;; amdgpu-corpus repo=ROCm/rocSOLVER kind=compiled arch=gfx950 opt=O3
	.amdgcn_target "amdgcn-amd-amdhsa--gfx950"
	.amdhsa_code_object_version 6
	.section	.text._ZN9rocsolver6v33100L10reset_infoIiiiEEvPT_T0_T1_S4_,"axG",@progbits,_ZN9rocsolver6v33100L10reset_infoIiiiEEvPT_T0_T1_S4_,comdat
	.globl	_ZN9rocsolver6v33100L10reset_infoIiiiEEvPT_T0_T1_S4_ ; -- Begin function _ZN9rocsolver6v33100L10reset_infoIiiiEEvPT_T0_T1_S4_
	.p2align	8
	.type	_ZN9rocsolver6v33100L10reset_infoIiiiEEvPT_T0_T1_S4_,@function
_ZN9rocsolver6v33100L10reset_infoIiiiEEvPT_T0_T1_S4_: ; @_ZN9rocsolver6v33100L10reset_infoIiiiEEvPT_T0_T1_S4_
; %bb.0:
	s_load_dword s3, s[0:1], 0x24
	s_load_dwordx4 s[4:7], s[0:1], 0x8
	s_waitcnt lgkmcnt(0)
	s_and_b32 s3, s3, 0xffff
	s_mul_i32 s2, s2, s3
	v_add_u32_e32 v0, s2, v0
	v_cmp_gt_i32_e32 vcc, s4, v0
	s_and_saveexec_b64 s[2:3], vcc
	s_cbranch_execz .LBB0_2
; %bb.1:
	s_load_dwordx2 s[0:1], s[0:1], 0x0
	v_ashrrev_i32_e32 v1, 31, v0
	v_mul_lo_u32 v2, v0, s6
	v_add_u32_e32 v2, s5, v2
	s_waitcnt lgkmcnt(0)
	v_lshl_add_u64 v[0:1], v[0:1], 2, s[0:1]
	global_store_dword v[0:1], v2, off
.LBB0_2:
	s_endpgm
	.section	.rodata,"a",@progbits
	.p2align	6, 0x0
	.amdhsa_kernel _ZN9rocsolver6v33100L10reset_infoIiiiEEvPT_T0_T1_S4_
		.amdhsa_group_segment_fixed_size 0
		.amdhsa_private_segment_fixed_size 0
		.amdhsa_kernarg_size 280
		.amdhsa_user_sgpr_count 2
		.amdhsa_user_sgpr_dispatch_ptr 0
		.amdhsa_user_sgpr_queue_ptr 0
		.amdhsa_user_sgpr_kernarg_segment_ptr 1
		.amdhsa_user_sgpr_dispatch_id 0
		.amdhsa_user_sgpr_kernarg_preload_length 0
		.amdhsa_user_sgpr_kernarg_preload_offset 0
		.amdhsa_user_sgpr_private_segment_size 0
		.amdhsa_uses_dynamic_stack 0
		.amdhsa_enable_private_segment 0
		.amdhsa_system_sgpr_workgroup_id_x 1
		.amdhsa_system_sgpr_workgroup_id_y 0
		.amdhsa_system_sgpr_workgroup_id_z 0
		.amdhsa_system_sgpr_workgroup_info 0
		.amdhsa_system_vgpr_workitem_id 0
		.amdhsa_next_free_vgpr 3
		.amdhsa_next_free_sgpr 8
		.amdhsa_accum_offset 4
		.amdhsa_reserve_vcc 1
		.amdhsa_float_round_mode_32 0
		.amdhsa_float_round_mode_16_64 0
		.amdhsa_float_denorm_mode_32 3
		.amdhsa_float_denorm_mode_16_64 3
		.amdhsa_dx10_clamp 1
		.amdhsa_ieee_mode 1
		.amdhsa_fp16_overflow 0
		.amdhsa_tg_split 0
		.amdhsa_exception_fp_ieee_invalid_op 0
		.amdhsa_exception_fp_denorm_src 0
		.amdhsa_exception_fp_ieee_div_zero 0
		.amdhsa_exception_fp_ieee_overflow 0
		.amdhsa_exception_fp_ieee_underflow 0
		.amdhsa_exception_fp_ieee_inexact 0
		.amdhsa_exception_int_div_zero 0
	.end_amdhsa_kernel
	.section	.text._ZN9rocsolver6v33100L10reset_infoIiiiEEvPT_T0_T1_S4_,"axG",@progbits,_ZN9rocsolver6v33100L10reset_infoIiiiEEvPT_T0_T1_S4_,comdat
.Lfunc_end0:
	.size	_ZN9rocsolver6v33100L10reset_infoIiiiEEvPT_T0_T1_S4_, .Lfunc_end0-_ZN9rocsolver6v33100L10reset_infoIiiiEEvPT_T0_T1_S4_
                                        ; -- End function
	.set _ZN9rocsolver6v33100L10reset_infoIiiiEEvPT_T0_T1_S4_.num_vgpr, 3
	.set _ZN9rocsolver6v33100L10reset_infoIiiiEEvPT_T0_T1_S4_.num_agpr, 0
	.set _ZN9rocsolver6v33100L10reset_infoIiiiEEvPT_T0_T1_S4_.numbered_sgpr, 8
	.set _ZN9rocsolver6v33100L10reset_infoIiiiEEvPT_T0_T1_S4_.num_named_barrier, 0
	.set _ZN9rocsolver6v33100L10reset_infoIiiiEEvPT_T0_T1_S4_.private_seg_size, 0
	.set _ZN9rocsolver6v33100L10reset_infoIiiiEEvPT_T0_T1_S4_.uses_vcc, 1
	.set _ZN9rocsolver6v33100L10reset_infoIiiiEEvPT_T0_T1_S4_.uses_flat_scratch, 0
	.set _ZN9rocsolver6v33100L10reset_infoIiiiEEvPT_T0_T1_S4_.has_dyn_sized_stack, 0
	.set _ZN9rocsolver6v33100L10reset_infoIiiiEEvPT_T0_T1_S4_.has_recursion, 0
	.set _ZN9rocsolver6v33100L10reset_infoIiiiEEvPT_T0_T1_S4_.has_indirect_call, 0
	.section	.AMDGPU.csdata,"",@progbits
; Kernel info:
; codeLenInByte = 96
; TotalNumSgprs: 14
; NumVgprs: 3
; NumAgprs: 0
; TotalNumVgprs: 3
; ScratchSize: 0
; MemoryBound: 0
; FloatMode: 240
; IeeeMode: 1
; LDSByteSize: 0 bytes/workgroup (compile time only)
; SGPRBlocks: 1
; VGPRBlocks: 0
; NumSGPRsForWavesPerEU: 14
; NumVGPRsForWavesPerEU: 3
; AccumOffset: 4
; Occupancy: 8
; WaveLimiterHint : 0
; COMPUTE_PGM_RSRC2:SCRATCH_EN: 0
; COMPUTE_PGM_RSRC2:USER_SGPR: 2
; COMPUTE_PGM_RSRC2:TRAP_HANDLER: 0
; COMPUTE_PGM_RSRC2:TGID_X_EN: 1
; COMPUTE_PGM_RSRC2:TGID_Y_EN: 0
; COMPUTE_PGM_RSRC2:TGID_Z_EN: 0
; COMPUTE_PGM_RSRC2:TIDIG_COMP_CNT: 0
; COMPUTE_PGM_RSRC3_GFX90A:ACCUM_OFFSET: 0
; COMPUTE_PGM_RSRC3_GFX90A:TG_SPLIT: 0
	.section	.text._ZN9rocsolver6v33100L18lasyf_kernel_upperIfPfEEviiPiT0_iilS3_lS3_PT_,"axG",@progbits,_ZN9rocsolver6v33100L18lasyf_kernel_upperIfPfEEviiPiT0_iilS3_lS3_PT_,comdat
	.globl	_ZN9rocsolver6v33100L18lasyf_kernel_upperIfPfEEviiPiT0_iilS3_lS3_PT_ ; -- Begin function _ZN9rocsolver6v33100L18lasyf_kernel_upperIfPfEEviiPiT0_iilS3_lS3_PT_
	.p2align	8
	.type	_ZN9rocsolver6v33100L18lasyf_kernel_upperIfPfEEviiPiT0_iilS3_lS3_PT_,@function
_ZN9rocsolver6v33100L18lasyf_kernel_upperIfPfEEviiPiT0_iilS3_lS3_PT_: ; @_ZN9rocsolver6v33100L18lasyf_kernel_upperIfPfEEviiPiT0_iilS3_lS3_PT_
; %bb.0:
	s_mov_b32 s40, s3
	v_cmp_eq_u32_e64 s[10:11], 0, v0
	s_and_saveexec_b64 s[2:3], s[10:11]
; %bb.1:
	v_mov_b32_e32 v1, 0
	ds_write_b32 v1, v1 offset:2052
; %bb.2:
	s_or_b64 exec, exec, s[2:3]
	s_load_dwordx2 s[24:25], s[0:1], 0x18
	s_load_dwordx2 s[26:27], s[0:1], 0x0
	s_load_dwordx4 s[20:23], s[0:1], 0x8
	s_load_dwordx8 s[12:19], s[0:1], 0x20
	s_load_dwordx2 s[30:31], s[0:1], 0x40
	s_ashr_i32 s41, s40, 31
	s_waitcnt lgkmcnt(0)
	s_ashr_i32 s1, s24, 31
	s_mov_b32 s0, s24
	s_mul_hi_u32 s2, s12, s40
	s_mul_i32 s3, s12, s41
	s_add_i32 s2, s2, s3
	s_mul_i32 s3, s13, s40
	s_add_i32 s3, s2, s3
	s_mul_i32 s2, s12, s40
	s_lshl_b64 s[34:35], s[2:3], 2
	s_add_u32 s2, s22, s34
	s_addc_u32 s3, s23, s35
	s_lshl_b64 s[36:37], s[0:1], 2
	s_mul_i32 s0, s26, s40
	s_add_u32 s28, s2, s36
	s_mul_i32 s38, s0, s27
	s_mul_hi_u32 s0, s16, s40
	s_mul_i32 s1, s16, s41
	s_addc_u32 s29, s3, s37
	s_add_i32 s0, s0, s1
	s_mul_i32 s1, s17, s40
	s_add_i32 s1, s0, s1
	s_mul_i32 s0, s16, s40
	s_ashr_i32 s39, s38, 31
	s_lshl_b64 s[0:1], s[0:1], 2
	s_add_u32 s24, s14, s0
	s_addc_u32 s33, s15, s1
	s_add_i32 s62, s26, -1
	s_cmp_lt_i32 s62, 0
	v_lshlrev_b32_e32 v2, 2, v0
	v_add_u32_e32 v1, 1, v0
	s_mov_b32 s4, s27
	s_mov_b32 s14, s62
	s_cbranch_scc1 .LBB1_213
; %bb.3:
	s_sub_i32 s63, s27, s26
	s_lshl_b64 s[0:1], s[38:39], 2
	s_add_u32 s16, s30, s0
	s_addc_u32 s17, s31, s1
	s_add_i32 s70, s27, -1
	s_sub_i32 s64, s26, s27
	s_cmp_eq_u32 s27, s26
	s_cselect_b64 s[0:1], -1, 0
	s_add_i32 s65, s25, 1
	s_lshl_b32 s66, s26, 1
	s_add_u32 s6, s34, s36
	s_addc_u32 s7, s35, s37
	s_add_u32 s42, s22, s6
	v_mov_b32_e32 v5, 0
	s_addc_u32 s43, s23, s7
	v_mov_b32_e32 v3, v5
	s_ashr_i32 s7, s26, 31
	s_mov_b32 s6, s26
	v_lshl_add_u64 v[6:7], s[42:43], 0, v[2:3]
	v_lshl_add_u64 v[8:9], s[16:17], 0, v[2:3]
	v_add_u32_e32 v3, s27, v0
	s_movk_i32 s2, 0x80
	s_lshl_b64 s[44:45], s[6:7], 2
	s_ashr_i32 s7, s25, 31
	s_mov_b32 s6, s25
	v_subrev_u32_e32 v3, s26, v3
	v_or_b32_e32 v20, 0x400, v2
	v_cmp_gt_u32_e64 s[2:3], s2, v0
	v_cmp_gt_u32_e64 s[4:5], 64, v0
	s_lshl_b64 s[46:47], s[6:7], 2
	s_lshl_b32 s67, s25, 8
	v_lshl_add_u64 v[10:11], v[8:9], 0, 4
	v_add_u32_e32 v3, 1, v3
	s_lshl_b32 s68, s26, 8
	s_mov_b64 s[48:49], 0x400
	s_mov_b32 s15, 0
	s_brev_b32 s69, -2
	s_xor_b64 s[50:51], s[0:1], -1
	s_mov_b32 s14, s62
	s_branch .LBB1_5
.LBB1_4:                                ;   in Loop: Header=BB1_5 Depth=1
	s_cbranch_execnz .LBB1_212
.LBB1_5:                                ; =>This Loop Header: Depth=1
                                        ;     Child Loop BB1_8 Depth 2
                                        ;     Child Loop BB1_15 Depth 2
                                        ;       Child Loop BB1_17 Depth 3
                                        ;     Child Loop BB1_21 Depth 2
                                        ;     Child Loop BB1_64 Depth 2
	;; [unrolled: 1-line block ×4, first 2 shown]
                                        ;       Child Loop BB1_76 Depth 3
                                        ;     Child Loop BB1_81 Depth 2
                                        ;     Child Loop BB1_123 Depth 2
	;; [unrolled: 1-line block ×9, first 2 shown]
	s_cmp_le_i32 s14, s64
	s_cselect_b64 s[0:1], -1, 0
	s_and_b64 s[0:1], s[50:51], s[0:1]
	s_and_b64 vcc, exec, s[0:1]
	s_cbranch_vccnz .LBB1_4
; %bb.6:                                ;   in Loop: Header=BB1_5 Depth=1
	v_cmp_ge_i32_e64 s[8:9], s14, v0
	s_and_saveexec_b64 s[0:1], s[8:9]
	s_cbranch_execz .LBB1_9
; %bb.7:                                ;   in Loop: Header=BB1_5 Depth=1
	s_mul_i32 s6, s14, s25
	s_mul_i32 s7, s70, s26
	v_add_u32_e32 v12, s7, v0
	v_add_u32_e32 v14, s6, v0
	v_ashrrev_i32_e32 v13, 31, v12
	v_ashrrev_i32_e32 v15, 31, v14
	v_lshl_add_u64 v[12:13], v[12:13], 2, s[16:17]
	v_lshl_add_u64 v[14:15], v[14:15], 2, s[42:43]
	s_mov_b64 s[6:7], 0
	s_waitcnt vmcnt(0)
	v_mov_b32_e32 v4, v0
.LBB1_8:                                ;   Parent Loop BB1_5 Depth=1
                                        ; =>  This Inner Loop Header: Depth=2
	global_load_dword v16, v[14:15], off
	v_add_u32_e32 v4, 0x100, v4
	v_cmp_lt_i32_e32 vcc, s14, v4
	v_lshl_add_u64 v[14:15], v[14:15], 0, s[48:49]
	s_or_b64 s[6:7], vcc, s[6:7]
	s_waitcnt vmcnt(0)
	global_store_dword v[12:13], v16, off
	v_lshl_add_u64 v[12:13], v[12:13], 0, s[48:49]
	s_andn2_b64 exec, exec, s[6:7]
	s_cbranch_execnz .LBB1_8
.LBB1_9:                                ;   in Loop: Header=BB1_5 Depth=1
	s_or_b64 exec, exec, s[0:1]
	s_cmp_ge_i32 s14, s62
	s_cselect_b64 s[54:55], -1, 0
	s_cmp_lt_i32 s14, s62
	s_mov_b64 s[0:1], -1
	s_barrier
                                        ; implicit-def: $sgpr52
	s_cbranch_scc1 .LBB1_11
; %bb.10:                               ;   in Loop: Header=BB1_5 Depth=1
	s_mul_i32 s52, s70, s26
	s_ashr_i32 s53, s52, 31
	s_mov_b64 s[0:1], 0
.LBB1_11:                               ;   in Loop: Header=BB1_5 Depth=1
	s_andn2_b64 vcc, exec, s[0:1]
	s_cbranch_vccnz .LBB1_19
; %bb.12:                               ;   in Loop: Header=BB1_5 Depth=1
	s_mul_i32 s52, s70, s26
	s_ashr_i32 s53, s52, 31
	s_and_saveexec_b64 s[0:1], s[8:9]
	s_cbranch_execz .LBB1_18
; %bb.13:                               ;   in Loop: Header=BB1_5 Depth=1
	s_add_i32 s6, s14, 1
	s_not_b32 s7, s14
	s_mul_i32 s56, s6, s25
	s_add_i32 s71, s26, s7
	s_ashr_i32 s57, s56, 31
	s_lshl_b64 s[6:7], s[14:15], 2
	s_add_u32 s12, s16, s6
	s_addc_u32 s13, s17, s7
	s_add_i32 s6, s70, 1
	s_mul_i32 s6, s6, s26
	s_ashr_i32 s7, s6, 31
	s_lshl_b64 s[6:7], s[6:7], 2
	s_add_u32 s6, s12, s6
	s_addc_u32 s7, s13, s7
	s_lshl_b64 s[12:13], s[52:53], 2
	s_add_u32 s12, s16, s12
	s_addc_u32 s13, s17, s13
	s_cmp_gt_i32 s71, 0
	v_lshl_add_u64 v[12:13], s[56:57], 2, v[6:7]
	s_mov_b64 s[56:57], 0
	s_cselect_b64 s[58:59], -1, 0
	s_waitcnt vmcnt(0)
	v_mov_b32_e32 v4, v0
	s_branch .LBB1_15
.LBB1_14:                               ;   in Loop: Header=BB1_15 Depth=2
	v_lshl_add_u64 v[14:15], v[4:5], 2, s[12:13]
	global_load_dword v17, v[14:15], off
	v_add_u32_e32 v4, 0x100, v4
	v_cmp_lt_i32_e32 vcc, s14, v4
	s_or_b64 s[56:57], vcc, s[56:57]
	v_lshl_add_u64 v[12:13], v[12:13], 0, s[48:49]
	s_waitcnt vmcnt(0)
	v_sub_f32_e32 v16, v17, v16
	global_store_dword v[14:15], v16, off
	s_andn2_b64 exec, exec, s[56:57]
	s_cbranch_execz .LBB1_18
.LBB1_15:                               ;   Parent Loop BB1_5 Depth=1
                                        ; =>  This Loop Header: Depth=2
                                        ;       Child Loop BB1_17 Depth 3
	v_mov_b32_e32 v16, 0
	s_andn2_b64 vcc, exec, s[58:59]
	s_cbranch_vccnz .LBB1_14
; %bb.16:                               ;   in Loop: Header=BB1_15 Depth=2
	v_mov_b64_e32 v[14:15], v[12:13]
	s_mov_b64 s[60:61], s[6:7]
	s_mov_b32 s72, s71
.LBB1_17:                               ;   Parent Loop BB1_5 Depth=1
                                        ;     Parent Loop BB1_15 Depth=2
                                        ; =>    This Inner Loop Header: Depth=3
	global_load_dword v17, v[14:15], off
	global_load_dword v18, v5, s[60:61]
	s_add_i32 s72, s72, -1
	s_add_u32 s60, s60, s44
	s_addc_u32 s61, s61, s45
	v_lshl_add_u64 v[14:15], v[14:15], 0, s[46:47]
	s_cmp_eq_u32 s72, 0
	s_waitcnt vmcnt(0)
	v_fmac_f32_e32 v16, v17, v18
	s_cbranch_scc0 .LBB1_17
	s_branch .LBB1_14
.LBB1_18:                               ;   in Loop: Header=BB1_5 Depth=1
	s_or_b64 exec, exec, s[0:1]
	s_barrier
.LBB1_19:                               ;   in Loop: Header=BB1_5 Depth=1
	v_cmp_gt_i32_e64 s[6:7], s14, v0
	s_waitcnt vmcnt(0)
	v_mov_b32_e32 v4, 0
	v_bfrev_b32_e32 v14, -2
	s_and_saveexec_b64 s[12:13], s[6:7]
	s_cbranch_execz .LBB1_23
; %bb.20:                               ;   in Loop: Header=BB1_5 Depth=1
	v_lshl_add_u64 v[12:13], s[52:53], 2, v[8:9]
	v_mov_b32_e32 v4, 0
	v_bfrev_b32_e32 v14, -2
	s_mov_b64 s[56:57], 0
	v_mov_b32_e32 v15, v0
.LBB1_21:                               ;   Parent Loop BB1_5 Depth=1
                                        ; =>  This Inner Loop Header: Depth=2
	global_load_dword v16, v[12:13], off
	v_cmp_eq_u32_e32 vcc, s69, v14
	v_add_u32_e32 v17, 1, v15
	v_add_u32_e32 v15, 0x100, v15
	v_cmp_le_i32_e64 s[0:1], s14, v15
	v_lshl_add_u64 v[12:13], v[12:13], 0, s[48:49]
	s_waitcnt vmcnt(0)
	v_cmp_lt_f32_e64 s[58:59], v4, |v16|
	s_or_b64 vcc, s[58:59], vcc
	v_cndmask_b32_e64 v4, v4, |v16|, vcc
	s_or_b64 s[56:57], s[0:1], s[56:57]
	v_cndmask_b32_e32 v14, v14, v17, vcc
	s_andn2_b64 exec, exec, s[56:57]
	s_cbranch_execnz .LBB1_21
; %bb.22:                               ;   in Loop: Header=BB1_5 Depth=1
	s_or_b64 exec, exec, s[56:57]
.LBB1_23:                               ;   in Loop: Header=BB1_5 Depth=1
	s_or_b64 exec, exec, s[12:13]
	s_cmp_lt_i32 s14, 2
	ds_write_b32 v20, v4
	ds_write_b32 v2, v14
	s_waitcnt lgkmcnt(0)
	s_barrier
	s_cbranch_scc1 .LBB1_58
; %bb.24:                               ;   in Loop: Header=BB1_5 Depth=1
	s_and_saveexec_b64 s[12:13], s[2:3]
	s_cbranch_execz .LBB1_30
; %bb.25:                               ;   in Loop: Header=BB1_5 Depth=1
	ds_read_b32 v12, v20 offset:512
	ds_read_b32 v13, v2 offset:512
	s_waitcnt lgkmcnt(1)
	v_cmp_lt_f32_e64 s[56:57], v4, v12
	v_cmp_nlt_f32_e32 vcc, v4, v12
	s_and_saveexec_b64 s[58:59], vcc
	s_cbranch_execz .LBB1_27
; %bb.26:                               ;   in Loop: Header=BB1_5 Depth=1
	v_cmp_eq_f32_e32 vcc, v4, v12
	s_waitcnt lgkmcnt(0)
	v_cmp_gt_i32_e64 s[0:1], v14, v13
	s_and_b64 s[0:1], vcc, s[0:1]
	s_andn2_b64 s[56:57], s[56:57], exec
	s_and_b64 s[0:1], s[0:1], exec
	s_or_b64 s[56:57], s[56:57], s[0:1]
.LBB1_27:                               ;   in Loop: Header=BB1_5 Depth=1
	s_or_b64 exec, exec, s[58:59]
	s_and_saveexec_b64 s[0:1], s[56:57]
	s_cbranch_execz .LBB1_29
; %bb.28:                               ;   in Loop: Header=BB1_5 Depth=1
	s_waitcnt lgkmcnt(0)
	v_mov_b32_e32 v14, v13
	v_mov_b32_e32 v4, v12
	ds_write_b32 v20, v12
	ds_write_b32 v2, v13
.LBB1_29:                               ;   in Loop: Header=BB1_5 Depth=1
	s_or_b64 exec, exec, s[0:1]
.LBB1_30:                               ;   in Loop: Header=BB1_5 Depth=1
	s_or_b64 exec, exec, s[12:13]
	s_waitcnt lgkmcnt(0)
	s_barrier
	s_and_saveexec_b64 s[56:57], s[4:5]
	s_cbranch_execz .LBB1_57
; %bb.31:                               ;   in Loop: Header=BB1_5 Depth=1
	ds_read_b32 v12, v20 offset:256
	ds_read_b32 v13, v2 offset:256
	s_waitcnt lgkmcnt(1)
	v_cmp_lt_f32_e64 s[12:13], v4, v12
	v_cmp_nlt_f32_e32 vcc, v4, v12
	s_and_saveexec_b64 s[58:59], vcc
	s_cbranch_execz .LBB1_33
; %bb.32:                               ;   in Loop: Header=BB1_5 Depth=1
	v_cmp_eq_f32_e32 vcc, v4, v12
	s_waitcnt lgkmcnt(0)
	v_cmp_gt_i32_e64 s[0:1], v14, v13
	s_and_b64 s[0:1], vcc, s[0:1]
	s_andn2_b64 s[12:13], s[12:13], exec
	s_and_b64 s[0:1], s[0:1], exec
	s_or_b64 s[12:13], s[12:13], s[0:1]
.LBB1_33:                               ;   in Loop: Header=BB1_5 Depth=1
	s_or_b64 exec, exec, s[58:59]
	s_and_saveexec_b64 s[0:1], s[12:13]
	s_cbranch_execz .LBB1_35
; %bb.34:                               ;   in Loop: Header=BB1_5 Depth=1
	v_mov_b32_e32 v4, v12
	s_waitcnt lgkmcnt(0)
	v_mov_b32_e32 v14, v13
	ds_write_b32 v20, v12
	ds_write_b32 v2, v13
.LBB1_35:                               ;   in Loop: Header=BB1_5 Depth=1
	s_or_b64 exec, exec, s[0:1]
	ds_read_b32 v12, v20 offset:128
	s_waitcnt lgkmcnt(1)
	ds_read_b32 v13, v2 offset:128
	s_waitcnt lgkmcnt(1)
	v_cmp_lt_f32_e64 s[12:13], v4, v12
	v_cmp_nlt_f32_e32 vcc, v4, v12
	s_and_saveexec_b64 s[58:59], vcc
	s_cbranch_execz .LBB1_37
; %bb.36:                               ;   in Loop: Header=BB1_5 Depth=1
	v_cmp_eq_f32_e32 vcc, v4, v12
	s_waitcnt lgkmcnt(0)
	v_cmp_gt_i32_e64 s[0:1], v14, v13
	s_and_b64 s[0:1], vcc, s[0:1]
	s_andn2_b64 s[12:13], s[12:13], exec
	s_and_b64 s[0:1], s[0:1], exec
	s_or_b64 s[12:13], s[12:13], s[0:1]
.LBB1_37:                               ;   in Loop: Header=BB1_5 Depth=1
	s_or_b64 exec, exec, s[58:59]
	s_and_saveexec_b64 s[0:1], s[12:13]
	s_cbranch_execz .LBB1_39
; %bb.38:                               ;   in Loop: Header=BB1_5 Depth=1
	v_mov_b32_e32 v4, v12
	s_waitcnt lgkmcnt(0)
	v_mov_b32_e32 v14, v13
	ds_write_b32 v20, v12
	ds_write_b32 v2, v13
.LBB1_39:                               ;   in Loop: Header=BB1_5 Depth=1
	s_or_b64 exec, exec, s[0:1]
	ds_read_b32 v12, v20 offset:64
	s_waitcnt lgkmcnt(1)
	;; [unrolled: 28-line block ×6, first 2 shown]
	ds_read_b32 v13, v2 offset:4
	s_waitcnt lgkmcnt(1)
	v_cmp_eq_f32_e64 s[0:1], v4, v12
	s_waitcnt lgkmcnt(0)
	v_cmp_gt_i32_e64 s[12:13], v14, v13
	v_cmp_lt_f32_e32 vcc, v4, v12
	s_and_b64 s[0:1], s[0:1], s[12:13]
	s_or_b64 s[0:1], vcc, s[0:1]
	s_and_b64 exec, exec, s[0:1]
	s_cbranch_execz .LBB1_57
; %bb.56:                               ;   in Loop: Header=BB1_5 Depth=1
	ds_write_b32 v20, v12
	ds_write_b32 v2, v13
.LBB1_57:                               ;   in Loop: Header=BB1_5 Depth=1
	s_or_b64 exec, exec, s[56:57]
.LBB1_58:                               ;   in Loop: Header=BB1_5 Depth=1
	s_and_saveexec_b64 s[0:1], s[10:11]
	s_cbranch_execz .LBB1_60
; %bb.59:                               ;   in Loop: Header=BB1_5 Depth=1
	s_add_i32 s12, s52, s14
	s_ashr_i32 s13, s12, 31
	s_lshl_b64 s[12:13], s[12:13], 2
	s_add_u32 s12, s16, s12
	s_addc_u32 s13, s17, s13
	global_load_dword v4, v5, s[12:13]
	ds_read2st64_b32 v[12:13], v5 offset1:4
	s_waitcnt lgkmcnt(0)
	v_add_u32_e32 v12, -1, v12
	ds_write_b32 v5, v12 offset:2048
	s_waitcnt vmcnt(0)
	v_and_b32_e32 v12, 0x7fffffff, v4
	ds_write_b64 v5, v[12:13] offset:2056
.LBB1_60:                               ;   in Loop: Header=BB1_5 Depth=1
	s_or_b64 exec, exec, s[0:1]
	s_waitcnt lgkmcnt(0)
	s_barrier
	ds_read_b64 v[12:13], v5 offset:2056
	s_waitcnt lgkmcnt(0)
	v_cmp_lt_f32_e32 vcc, v12, v13
	s_nop 1
	v_cndmask_b32_e32 v4, v12, v13, vcc
	v_cmp_neq_f32_e32 vcc, 0, v4
	s_cbranch_vccz .LBB1_77
; %bb.61:                               ;   in Loop: Header=BB1_5 Depth=1
	v_mul_f32_e32 v4, 0x3f23f07b, v13
	v_cmp_ge_f32_e32 vcc, v12, v4
	s_cbranch_vccnz .LBB1_169
; %bb.62:                               ;   in Loop: Header=BB1_5 Depth=1
	ds_read_b32 v4, v5 offset:2048
	s_waitcnt lgkmcnt(0)
	v_readfirstlane_b32 s53, v4
	v_cmp_le_i32_e32 vcc, v0, v4
	s_and_saveexec_b64 s[0:1], vcc
	s_cbranch_execz .LBB1_65
; %bb.63:                               ;   in Loop: Header=BB1_5 Depth=1
	s_add_i32 s13, s70, -1
	s_mul_i32 s12, s53, s25
	s_mul_i32 s13, s13, s26
	v_add_u32_e32 v12, s13, v0
	v_add_u32_e32 v14, s12, v0
	v_ashrrev_i32_e32 v13, 31, v12
	v_ashrrev_i32_e32 v15, 31, v14
	v_lshl_add_u64 v[12:13], v[12:13], 2, s[16:17]
	v_lshl_add_u64 v[14:15], v[14:15], 2, s[42:43]
	s_mov_b64 s[12:13], 0
	v_mov_b32_e32 v4, v0
.LBB1_64:                               ;   Parent Loop BB1_5 Depth=1
                                        ; =>  This Inner Loop Header: Depth=2
	global_load_dword v16, v[14:15], off
	v_add_u32_e32 v4, 0x100, v4
	v_cmp_lt_i32_e32 vcc, s53, v4
	v_lshl_add_u64 v[14:15], v[14:15], 0, s[48:49]
	s_or_b64 s[12:13], vcc, s[12:13]
	s_waitcnt vmcnt(0)
	global_store_dword v[12:13], v16, off
	v_lshl_add_u64 v[12:13], v[12:13], 0, s[48:49]
	s_andn2_b64 exec, exec, s[12:13]
	s_cbranch_execnz .LBB1_64
.LBB1_65:                               ;   in Loop: Header=BB1_5 Depth=1
	s_or_b64 exec, exec, s[0:1]
	s_sub_i32 s56, s14, s53
	v_cmp_gt_i32_e32 vcc, s56, v0
	s_and_saveexec_b64 s[0:1], vcc
	s_cbranch_execz .LBB1_68
; %bb.66:                               ;   in Loop: Header=BB1_5 Depth=1
	s_add_i32 s12, s70, -1
	s_mul_i32 s12, s12, s26
	v_add_u32_e32 v4, s53, v1
	s_add_i32 s57, s53, s12
	v_mul_lo_u32 v4, s25, v4
	s_add_i32 s57, s57, 1
	v_add_u32_e32 v12, s53, v4
	s_mov_b64 s[12:13], 0
	v_mov_b32_e32 v4, v0
.LBB1_67:                               ;   Parent Loop BB1_5 Depth=1
                                        ; =>  This Inner Loop Header: Depth=2
	v_ashrrev_i32_e32 v13, 31, v12
	v_lshl_add_u64 v[14:15], v[12:13], 2, s[28:29]
	global_load_dword v13, v[14:15], off
	v_add_u32_e32 v14, s57, v4
	v_add_u32_e32 v4, 0x100, v4
	v_ashrrev_i32_e32 v15, 31, v14
	v_cmp_le_i32_e32 vcc, s56, v4
	v_add_u32_e32 v12, s67, v12
	v_lshl_add_u64 v[14:15], v[14:15], 2, s[16:17]
	s_or_b64 s[12:13], vcc, s[12:13]
	s_waitcnt vmcnt(0)
	global_store_dword v[14:15], v13, off
	s_andn2_b64 exec, exec, s[12:13]
	s_cbranch_execnz .LBB1_67
.LBB1_68:                               ;   in Loop: Header=BB1_5 Depth=1
	s_or_b64 exec, exec, s[0:1]
	s_andn2_b64 vcc, exec, s[54:55]
	s_mov_b64 s[0:1], -1
	s_barrier
                                        ; implicit-def: $sgpr54
	s_cbranch_vccnz .LBB1_70
; %bb.69:                               ;   in Loop: Header=BB1_5 Depth=1
	s_add_i32 s0, s70, -1
	s_mul_i32 s54, s0, s26
	s_ashr_i32 s55, s54, 31
	s_mov_b64 s[0:1], 0
.LBB1_70:                               ;   in Loop: Header=BB1_5 Depth=1
	s_andn2_b64 vcc, exec, s[0:1]
	s_cbranch_vccnz .LBB1_79
; %bb.71:                               ;   in Loop: Header=BB1_5 Depth=1
	s_add_i32 s0, s70, 1
	s_mul_i32 s12, s0, s26
	s_sub_i32 s54, s12, s66
	s_ashr_i32 s55, s54, 31
	s_and_saveexec_b64 s[0:1], s[8:9]
	s_cbranch_execz .LBB1_78
; %bb.72:                               ;   in Loop: Header=BB1_5 Depth=1
	ds_read_b32 v12, v5 offset:2048
	s_add_i32 s13, s14, 1
	s_mul_i32 s58, s13, s25
	s_ashr_i32 s13, s12, 31
	s_not_b32 s53, s14
	s_waitcnt lgkmcnt(0)
	v_ashrrev_i32_e32 v13, 31, v12
	v_lshlrev_b64 v[12:13], 2, v[12:13]
	v_lshl_add_u64 v[12:13], s[16:17], 0, v[12:13]
	s_lshl_b64 s[12:13], s[12:13], 2
	s_add_i32 s53, s26, s53
	s_ashr_i32 s59, s58, 31
	v_lshl_add_u64 v[12:13], v[12:13], 0, s[12:13]
	s_lshl_b64 s[12:13], s[54:55], 2
	s_add_u32 s12, s16, s12
	s_addc_u32 s13, s17, s13
	s_cmp_gt_i32 s53, 0
	s_cselect_b64 s[56:57], -1, 0
	v_lshl_add_u64 v[14:15], s[58:59], 2, v[6:7]
	s_mov_b64 s[58:59], 0
	v_mov_b32_e32 v4, v0
	s_branch .LBB1_74
.LBB1_73:                               ;   in Loop: Header=BB1_74 Depth=2
	v_lshl_add_u64 v[16:17], v[4:5], 2, s[12:13]
	global_load_dword v18, v[16:17], off
	v_add_u32_e32 v4, 0x100, v4
	v_cmp_lt_i32_e32 vcc, s14, v4
	s_or_b64 s[58:59], vcc, s[58:59]
	v_lshl_add_u64 v[14:15], v[14:15], 0, s[48:49]
	s_waitcnt vmcnt(0)
	v_sub_f32_e32 v18, v18, v21
	global_store_dword v[16:17], v18, off
	s_andn2_b64 exec, exec, s[58:59]
	s_cbranch_execz .LBB1_78
.LBB1_74:                               ;   Parent Loop BB1_5 Depth=1
                                        ; =>  This Loop Header: Depth=2
                                        ;       Child Loop BB1_76 Depth 3
	v_mov_b32_e32 v21, 0
	s_andn2_b64 vcc, exec, s[56:57]
	s_cbranch_vccnz .LBB1_73
; %bb.75:                               ;   in Loop: Header=BB1_74 Depth=2
	v_mov_b64_e32 v[16:17], v[14:15]
	v_mov_b64_e32 v[18:19], v[12:13]
	s_mov_b32 s60, s53
.LBB1_76:                               ;   Parent Loop BB1_5 Depth=1
                                        ;     Parent Loop BB1_74 Depth=2
                                        ; =>    This Inner Loop Header: Depth=3
	global_load_dword v22, v[16:17], off
	global_load_dword v23, v[18:19], off
	s_add_i32 s60, s60, -1
	v_lshl_add_u64 v[18:19], v[18:19], 0, s[44:45]
	v_lshl_add_u64 v[16:17], v[16:17], 0, s[46:47]
	s_cmp_eq_u32 s60, 0
	s_waitcnt vmcnt(0)
	v_fmac_f32_e32 v21, v22, v23
	s_cbranch_scc0 .LBB1_76
	s_branch .LBB1_73
.LBB1_77:                               ;   in Loop: Header=BB1_5 Depth=1
	s_mov_b64 s[0:1], -1
                                        ; implicit-def: $sgpr53
                                        ; implicit-def: $sgpr12
                                        ; implicit-def: $sgpr8_sgpr9
	s_branch .LBB1_201
.LBB1_78:                               ;   in Loop: Header=BB1_5 Depth=1
	s_or_b64 exec, exec, s[0:1]
	s_barrier
.LBB1_79:                               ;   in Loop: Header=BB1_5 Depth=1
	ds_read_b32 v12, v5 offset:2048
	v_mov_b32_e32 v4, 0
	v_bfrev_b32_e32 v14, -2
	s_waitcnt lgkmcnt(0)
	v_sub_u32_e32 v15, s14, v12
	v_cmp_lt_i32_e32 vcc, v0, v15
	s_and_saveexec_b64 s[12:13], vcc
	s_cbranch_execz .LBB1_83
; %bb.80:                               ;   in Loop: Header=BB1_5 Depth=1
	v_ashrrev_i32_e32 v13, 31, v12
	s_lshl_b64 s[0:1], s[54:55], 2
	v_lshlrev_b64 v[12:13], 2, v[12:13]
	v_lshl_add_u64 v[12:13], s[0:1], 0, v[12:13]
	v_lshl_add_u64 v[12:13], v[10:11], 0, v[12:13]
	v_mov_b32_e32 v4, 0
	v_bfrev_b32_e32 v14, -2
	s_mov_b64 s[56:57], 0
	v_mov_b32_e32 v16, v0
.LBB1_81:                               ;   Parent Loop BB1_5 Depth=1
                                        ; =>  This Inner Loop Header: Depth=2
	global_load_dword v17, v[12:13], off
	v_cmp_eq_u32_e32 vcc, s69, v14
	v_add_u32_e32 v18, 1, v16
	v_add_u32_e32 v16, 0x100, v16
	v_cmp_ge_i32_e64 s[0:1], v16, v15
	v_lshl_add_u64 v[12:13], v[12:13], 0, s[48:49]
	s_waitcnt vmcnt(0)
	v_cmp_lt_f32_e64 s[58:59], v4, |v17|
	s_or_b64 vcc, s[58:59], vcc
	v_cndmask_b32_e64 v4, v4, |v17|, vcc
	s_or_b64 s[56:57], s[0:1], s[56:57]
	v_cndmask_b32_e32 v14, v14, v18, vcc
	s_andn2_b64 exec, exec, s[56:57]
	s_cbranch_execnz .LBB1_81
; %bb.82:                               ;   in Loop: Header=BB1_5 Depth=1
	s_or_b64 exec, exec, s[56:57]
.LBB1_83:                               ;   in Loop: Header=BB1_5 Depth=1
	s_or_b64 exec, exec, s[12:13]
	v_cmp_gt_i32_e32 vcc, 2, v15
	s_and_b64 vcc, exec, vcc
	ds_write_b32 v20, v4
	ds_write_b32 v2, v14
	s_waitcnt lgkmcnt(0)
	s_barrier
	s_cbranch_vccnz .LBB1_118
; %bb.84:                               ;   in Loop: Header=BB1_5 Depth=1
	s_and_saveexec_b64 s[12:13], s[2:3]
	s_cbranch_execz .LBB1_90
; %bb.85:                               ;   in Loop: Header=BB1_5 Depth=1
	ds_read_b32 v12, v20 offset:512
	ds_read_b32 v13, v2 offset:512
	s_waitcnt lgkmcnt(1)
	v_cmp_lt_f32_e64 s[56:57], v4, v12
	v_cmp_nlt_f32_e32 vcc, v4, v12
	s_and_saveexec_b64 s[58:59], vcc
	s_cbranch_execz .LBB1_87
; %bb.86:                               ;   in Loop: Header=BB1_5 Depth=1
	v_cmp_eq_f32_e32 vcc, v4, v12
	s_waitcnt lgkmcnt(0)
	v_cmp_gt_i32_e64 s[0:1], v14, v13
	s_and_b64 s[0:1], vcc, s[0:1]
	s_andn2_b64 s[56:57], s[56:57], exec
	s_and_b64 s[0:1], s[0:1], exec
	s_or_b64 s[56:57], s[56:57], s[0:1]
.LBB1_87:                               ;   in Loop: Header=BB1_5 Depth=1
	s_or_b64 exec, exec, s[58:59]
	s_and_saveexec_b64 s[0:1], s[56:57]
	s_cbranch_execz .LBB1_89
; %bb.88:                               ;   in Loop: Header=BB1_5 Depth=1
	s_waitcnt lgkmcnt(0)
	v_mov_b32_e32 v14, v13
	v_mov_b32_e32 v4, v12
	ds_write_b32 v20, v12
	ds_write_b32 v2, v13
.LBB1_89:                               ;   in Loop: Header=BB1_5 Depth=1
	s_or_b64 exec, exec, s[0:1]
.LBB1_90:                               ;   in Loop: Header=BB1_5 Depth=1
	s_or_b64 exec, exec, s[12:13]
	s_waitcnt lgkmcnt(0)
	s_barrier
	s_and_saveexec_b64 s[56:57], s[4:5]
	s_cbranch_execz .LBB1_117
; %bb.91:                               ;   in Loop: Header=BB1_5 Depth=1
	ds_read_b32 v12, v20 offset:256
	ds_read_b32 v13, v2 offset:256
	s_waitcnt lgkmcnt(1)
	v_cmp_lt_f32_e64 s[12:13], v4, v12
	v_cmp_nlt_f32_e32 vcc, v4, v12
	s_and_saveexec_b64 s[58:59], vcc
	s_cbranch_execz .LBB1_93
; %bb.92:                               ;   in Loop: Header=BB1_5 Depth=1
	v_cmp_eq_f32_e32 vcc, v4, v12
	s_waitcnt lgkmcnt(0)
	v_cmp_gt_i32_e64 s[0:1], v14, v13
	s_and_b64 s[0:1], vcc, s[0:1]
	s_andn2_b64 s[12:13], s[12:13], exec
	s_and_b64 s[0:1], s[0:1], exec
	s_or_b64 s[12:13], s[12:13], s[0:1]
.LBB1_93:                               ;   in Loop: Header=BB1_5 Depth=1
	s_or_b64 exec, exec, s[58:59]
	s_and_saveexec_b64 s[0:1], s[12:13]
	s_cbranch_execz .LBB1_95
; %bb.94:                               ;   in Loop: Header=BB1_5 Depth=1
	v_mov_b32_e32 v4, v12
	s_waitcnt lgkmcnt(0)
	v_mov_b32_e32 v14, v13
	ds_write_b32 v20, v12
	ds_write_b32 v2, v13
.LBB1_95:                               ;   in Loop: Header=BB1_5 Depth=1
	s_or_b64 exec, exec, s[0:1]
	ds_read_b32 v12, v20 offset:128
	s_waitcnt lgkmcnt(1)
	ds_read_b32 v13, v2 offset:128
	s_waitcnt lgkmcnt(1)
	v_cmp_lt_f32_e64 s[12:13], v4, v12
	v_cmp_nlt_f32_e32 vcc, v4, v12
	s_and_saveexec_b64 s[58:59], vcc
	s_cbranch_execz .LBB1_97
; %bb.96:                               ;   in Loop: Header=BB1_5 Depth=1
	v_cmp_eq_f32_e32 vcc, v4, v12
	s_waitcnt lgkmcnt(0)
	v_cmp_gt_i32_e64 s[0:1], v14, v13
	s_and_b64 s[0:1], vcc, s[0:1]
	s_andn2_b64 s[12:13], s[12:13], exec
	s_and_b64 s[0:1], s[0:1], exec
	s_or_b64 s[12:13], s[12:13], s[0:1]
.LBB1_97:                               ;   in Loop: Header=BB1_5 Depth=1
	s_or_b64 exec, exec, s[58:59]
	s_and_saveexec_b64 s[0:1], s[12:13]
	s_cbranch_execz .LBB1_99
; %bb.98:                               ;   in Loop: Header=BB1_5 Depth=1
	v_mov_b32_e32 v4, v12
	s_waitcnt lgkmcnt(0)
	v_mov_b32_e32 v14, v13
	ds_write_b32 v20, v12
	ds_write_b32 v2, v13
.LBB1_99:                               ;   in Loop: Header=BB1_5 Depth=1
	s_or_b64 exec, exec, s[0:1]
	ds_read_b32 v12, v20 offset:64
	s_waitcnt lgkmcnt(1)
	ds_read_b32 v13, v2 offset:64
	s_waitcnt lgkmcnt(1)
	v_cmp_lt_f32_e64 s[12:13], v4, v12
	v_cmp_nlt_f32_e32 vcc, v4, v12
	s_and_saveexec_b64 s[58:59], vcc
	s_cbranch_execz .LBB1_101
; %bb.100:                              ;   in Loop: Header=BB1_5 Depth=1
	v_cmp_eq_f32_e32 vcc, v4, v12
	s_waitcnt lgkmcnt(0)
	v_cmp_gt_i32_e64 s[0:1], v14, v13
	s_and_b64 s[0:1], vcc, s[0:1]
	s_andn2_b64 s[12:13], s[12:13], exec
	s_and_b64 s[0:1], s[0:1], exec
	s_or_b64 s[12:13], s[12:13], s[0:1]
.LBB1_101:                              ;   in Loop: Header=BB1_5 Depth=1
	s_or_b64 exec, exec, s[58:59]
	s_and_saveexec_b64 s[0:1], s[12:13]
	s_cbranch_execz .LBB1_103
; %bb.102:                              ;   in Loop: Header=BB1_5 Depth=1
	v_mov_b32_e32 v4, v12
	s_waitcnt lgkmcnt(0)
	v_mov_b32_e32 v14, v13
	ds_write_b32 v20, v12
	ds_write_b32 v2, v13
.LBB1_103:                              ;   in Loop: Header=BB1_5 Depth=1
	s_or_b64 exec, exec, s[0:1]
	ds_read_b32 v12, v20 offset:32
	s_waitcnt lgkmcnt(1)
	ds_read_b32 v13, v2 offset:32
	s_waitcnt lgkmcnt(1)
	v_cmp_lt_f32_e64 s[12:13], v4, v12
	v_cmp_nlt_f32_e32 vcc, v4, v12
	s_and_saveexec_b64 s[58:59], vcc
	s_cbranch_execz .LBB1_105
; %bb.104:                              ;   in Loop: Header=BB1_5 Depth=1
	v_cmp_eq_f32_e32 vcc, v4, v12
	s_waitcnt lgkmcnt(0)
	v_cmp_gt_i32_e64 s[0:1], v14, v13
	s_and_b64 s[0:1], vcc, s[0:1]
	s_andn2_b64 s[12:13], s[12:13], exec
	s_and_b64 s[0:1], s[0:1], exec
	s_or_b64 s[12:13], s[12:13], s[0:1]
.LBB1_105:                              ;   in Loop: Header=BB1_5 Depth=1
	s_or_b64 exec, exec, s[58:59]
	s_and_saveexec_b64 s[0:1], s[12:13]
	s_cbranch_execz .LBB1_107
; %bb.106:                              ;   in Loop: Header=BB1_5 Depth=1
	v_mov_b32_e32 v4, v12
	s_waitcnt lgkmcnt(0)
	v_mov_b32_e32 v14, v13
	ds_write_b32 v20, v12
	ds_write_b32 v2, v13
.LBB1_107:                              ;   in Loop: Header=BB1_5 Depth=1
	;; [unrolled: 28-line block ×4, first 2 shown]
	s_or_b64 exec, exec, s[0:1]
	ds_read_b32 v12, v20 offset:4
	s_waitcnt lgkmcnt(1)
	ds_read_b32 v13, v2 offset:4
	s_waitcnt lgkmcnt(1)
	v_cmp_eq_f32_e64 s[0:1], v4, v12
	s_waitcnt lgkmcnt(0)
	v_cmp_gt_i32_e64 s[12:13], v14, v13
	v_cmp_lt_f32_e32 vcc, v4, v12
	s_and_b64 s[0:1], s[0:1], s[12:13]
	s_or_b64 s[0:1], vcc, s[0:1]
	s_and_b64 exec, exec, s[0:1]
	s_cbranch_execz .LBB1_117
; %bb.116:                              ;   in Loop: Header=BB1_5 Depth=1
	ds_write_b32 v20, v12
	ds_write_b32 v2, v13
.LBB1_117:                              ;   in Loop: Header=BB1_5 Depth=1
	s_or_b64 exec, exec, s[56:57]
.LBB1_118:                              ;   in Loop: Header=BB1_5 Depth=1
	s_and_saveexec_b64 s[0:1], s[10:11]
	s_cbranch_execz .LBB1_120
; %bb.119:                              ;   in Loop: Header=BB1_5 Depth=1
	ds_read_b32 v4, v5 offset:1024
	s_waitcnt lgkmcnt(0)
	ds_write_b32 v5, v4 offset:2064
.LBB1_120:                              ;   in Loop: Header=BB1_5 Depth=1
	s_or_b64 exec, exec, s[0:1]
	ds_read_b32 v15, v5 offset:2048
	s_waitcnt lgkmcnt(0)
	v_cmp_gt_i32_e32 vcc, 1, v15
	s_cbranch_vccnz .LBB1_163
; %bb.121:                              ;   in Loop: Header=BB1_5 Depth=1
	v_cmp_lt_i32_e32 vcc, v0, v15
	v_mov_b32_e32 v4, 0
	v_bfrev_b32_e32 v14, -2
	s_and_saveexec_b64 s[12:13], vcc
	s_cbranch_execz .LBB1_125
; %bb.122:                              ;   in Loop: Header=BB1_5 Depth=1
	v_lshl_add_u64 v[12:13], s[54:55], 2, v[8:9]
	v_mov_b32_e32 v4, 0
	v_bfrev_b32_e32 v14, -2
	s_mov_b64 s[56:57], 0
	v_mov_b32_e32 v16, v0
.LBB1_123:                              ;   Parent Loop BB1_5 Depth=1
                                        ; =>  This Inner Loop Header: Depth=2
	global_load_dword v17, v[12:13], off
	v_cmp_eq_u32_e32 vcc, s69, v14
	v_add_u32_e32 v18, 1, v16
	v_add_u32_e32 v16, 0x100, v16
	v_cmp_ge_i32_e64 s[0:1], v16, v15
	v_lshl_add_u64 v[12:13], v[12:13], 0, s[48:49]
	s_waitcnt vmcnt(0)
	v_cmp_lt_f32_e64 s[58:59], v4, |v17|
	s_or_b64 vcc, s[58:59], vcc
	v_cndmask_b32_e64 v4, v4, |v17|, vcc
	s_or_b64 s[56:57], s[0:1], s[56:57]
	v_cndmask_b32_e32 v14, v14, v18, vcc
	s_andn2_b64 exec, exec, s[56:57]
	s_cbranch_execnz .LBB1_123
; %bb.124:                              ;   in Loop: Header=BB1_5 Depth=1
	s_or_b64 exec, exec, s[56:57]
.LBB1_125:                              ;   in Loop: Header=BB1_5 Depth=1
	s_or_b64 exec, exec, s[12:13]
	v_cmp_eq_u32_e32 vcc, 1, v15
	s_and_b64 vcc, exec, vcc
	ds_write_b32 v20, v4
	ds_write_b32 v2, v14
	s_waitcnt lgkmcnt(0)
	s_barrier
	s_cbranch_vccnz .LBB1_160
; %bb.126:                              ;   in Loop: Header=BB1_5 Depth=1
	s_and_saveexec_b64 s[12:13], s[2:3]
	s_cbranch_execz .LBB1_132
; %bb.127:                              ;   in Loop: Header=BB1_5 Depth=1
	ds_read_b32 v12, v20 offset:512
	ds_read_b32 v13, v2 offset:512
	s_waitcnt lgkmcnt(1)
	v_cmp_lt_f32_e64 s[56:57], v4, v12
	v_cmp_nlt_f32_e32 vcc, v4, v12
	s_and_saveexec_b64 s[58:59], vcc
	s_cbranch_execz .LBB1_129
; %bb.128:                              ;   in Loop: Header=BB1_5 Depth=1
	v_cmp_eq_f32_e32 vcc, v4, v12
	s_waitcnt lgkmcnt(0)
	v_cmp_gt_i32_e64 s[0:1], v14, v13
	s_and_b64 s[0:1], vcc, s[0:1]
	s_andn2_b64 s[56:57], s[56:57], exec
	s_and_b64 s[0:1], s[0:1], exec
	s_or_b64 s[56:57], s[56:57], s[0:1]
.LBB1_129:                              ;   in Loop: Header=BB1_5 Depth=1
	s_or_b64 exec, exec, s[58:59]
	s_and_saveexec_b64 s[0:1], s[56:57]
	s_cbranch_execz .LBB1_131
; %bb.130:                              ;   in Loop: Header=BB1_5 Depth=1
	s_waitcnt lgkmcnt(0)
	v_mov_b32_e32 v14, v13
	v_mov_b32_e32 v4, v12
	ds_write_b32 v20, v12
	ds_write_b32 v2, v13
.LBB1_131:                              ;   in Loop: Header=BB1_5 Depth=1
	s_or_b64 exec, exec, s[0:1]
.LBB1_132:                              ;   in Loop: Header=BB1_5 Depth=1
	s_or_b64 exec, exec, s[12:13]
	s_waitcnt lgkmcnt(0)
	s_barrier
	s_and_saveexec_b64 s[56:57], s[4:5]
	s_cbranch_execz .LBB1_159
; %bb.133:                              ;   in Loop: Header=BB1_5 Depth=1
	ds_read_b32 v12, v20 offset:256
	ds_read_b32 v13, v2 offset:256
	s_waitcnt lgkmcnt(1)
	v_cmp_lt_f32_e64 s[12:13], v4, v12
	v_cmp_nlt_f32_e32 vcc, v4, v12
	s_and_saveexec_b64 s[58:59], vcc
	s_cbranch_execz .LBB1_135
; %bb.134:                              ;   in Loop: Header=BB1_5 Depth=1
	v_cmp_eq_f32_e32 vcc, v4, v12
	s_waitcnt lgkmcnt(0)
	v_cmp_gt_i32_e64 s[0:1], v14, v13
	s_and_b64 s[0:1], vcc, s[0:1]
	s_andn2_b64 s[12:13], s[12:13], exec
	s_and_b64 s[0:1], s[0:1], exec
	s_or_b64 s[12:13], s[12:13], s[0:1]
.LBB1_135:                              ;   in Loop: Header=BB1_5 Depth=1
	s_or_b64 exec, exec, s[58:59]
	s_and_saveexec_b64 s[0:1], s[12:13]
	s_cbranch_execz .LBB1_137
; %bb.136:                              ;   in Loop: Header=BB1_5 Depth=1
	v_mov_b32_e32 v4, v12
	s_waitcnt lgkmcnt(0)
	v_mov_b32_e32 v14, v13
	ds_write_b32 v20, v12
	ds_write_b32 v2, v13
.LBB1_137:                              ;   in Loop: Header=BB1_5 Depth=1
	s_or_b64 exec, exec, s[0:1]
	ds_read_b32 v12, v20 offset:128
	s_waitcnt lgkmcnt(1)
	ds_read_b32 v13, v2 offset:128
	s_waitcnt lgkmcnt(1)
	v_cmp_lt_f32_e64 s[12:13], v4, v12
	v_cmp_nlt_f32_e32 vcc, v4, v12
	s_and_saveexec_b64 s[58:59], vcc
	s_cbranch_execz .LBB1_139
; %bb.138:                              ;   in Loop: Header=BB1_5 Depth=1
	v_cmp_eq_f32_e32 vcc, v4, v12
	s_waitcnt lgkmcnt(0)
	v_cmp_gt_i32_e64 s[0:1], v14, v13
	s_and_b64 s[0:1], vcc, s[0:1]
	s_andn2_b64 s[12:13], s[12:13], exec
	s_and_b64 s[0:1], s[0:1], exec
	s_or_b64 s[12:13], s[12:13], s[0:1]
.LBB1_139:                              ;   in Loop: Header=BB1_5 Depth=1
	s_or_b64 exec, exec, s[58:59]
	s_and_saveexec_b64 s[0:1], s[12:13]
	s_cbranch_execz .LBB1_141
; %bb.140:                              ;   in Loop: Header=BB1_5 Depth=1
	v_mov_b32_e32 v4, v12
	s_waitcnt lgkmcnt(0)
	v_mov_b32_e32 v14, v13
	ds_write_b32 v20, v12
	ds_write_b32 v2, v13
.LBB1_141:                              ;   in Loop: Header=BB1_5 Depth=1
	s_or_b64 exec, exec, s[0:1]
	ds_read_b32 v12, v20 offset:64
	s_waitcnt lgkmcnt(1)
	;; [unrolled: 28-line block ×6, first 2 shown]
	ds_read_b32 v13, v2 offset:4
	s_waitcnt lgkmcnt(1)
	v_cmp_eq_f32_e64 s[0:1], v4, v12
	s_waitcnt lgkmcnt(0)
	v_cmp_gt_i32_e64 s[12:13], v14, v13
	v_cmp_lt_f32_e32 vcc, v4, v12
	s_and_b64 s[0:1], s[0:1], s[12:13]
	s_or_b64 s[0:1], vcc, s[0:1]
	s_and_b64 exec, exec, s[0:1]
	s_cbranch_execz .LBB1_159
; %bb.158:                              ;   in Loop: Header=BB1_5 Depth=1
	ds_write_b32 v20, v12
	ds_write_b32 v2, v13
.LBB1_159:                              ;   in Loop: Header=BB1_5 Depth=1
	s_or_b64 exec, exec, s[56:57]
.LBB1_160:                              ;   in Loop: Header=BB1_5 Depth=1
	s_and_saveexec_b64 s[0:1], s[10:11]
	s_cbranch_execz .LBB1_162
; %bb.161:                              ;   in Loop: Header=BB1_5 Depth=1
	ds_read_b32 v4, v5 offset:2064
	ds_read_b32 v12, v5 offset:1024
	s_waitcnt lgkmcnt(0)
	v_cmp_lt_f32_e32 vcc, v4, v12
	s_nop 1
	v_cndmask_b32_e32 v4, v4, v12, vcc
	ds_write_b32 v5, v4 offset:2064
.LBB1_162:                              ;   in Loop: Header=BB1_5 Depth=1
	s_or_b64 exec, exec, s[0:1]
.LBB1_163:                              ;   in Loop: Header=BB1_5 Depth=1
	s_waitcnt lgkmcnt(0)
	s_barrier
	ds_read_b64 v[12:13], v5 offset:2056
	ds_read_b32 v4, v5 offset:2064
	s_waitcnt lgkmcnt(1)
	v_mul_f32_e32 v16, 0x3f23f07b, v13
	s_waitcnt lgkmcnt(0)
	v_div_scale_f32 v14, s[0:1], v4, v4, v13
	v_rcp_f32_e32 v15, v14
	s_nop 0
	v_fma_f32 v17, -v14, v15, 1.0
	v_fmac_f32_e32 v15, v17, v15
	v_div_scale_f32 v17, vcc, v13, v4, v13
	v_mul_f32_e32 v18, v17, v15
	v_fma_f32 v19, -v14, v18, v17
	v_fmac_f32_e32 v18, v19, v15
	v_fma_f32 v14, -v14, v18, v17
	v_div_fmas_f32 v14, v14, v15, v18
	v_div_fixup_f32 v13, v14, v4, v13
	v_mul_f32_e32 v13, v16, v13
	v_cmp_ge_f32_e32 vcc, v12, v13
	s_cbranch_vccnz .LBB1_169
; %bb.164:                              ;   in Loop: Header=BB1_5 Depth=1
	ds_read_b32 v12, v5 offset:2048
	v_mul_f32_e32 v4, 0x3f23f07b, v4
	s_waitcnt lgkmcnt(0)
	v_readfirstlane_b32 s0, v12
	s_add_i32 s0, s0, s54
	s_ashr_i32 s1, s0, 31
	s_lshl_b64 s[0:1], s[0:1], 2
	s_add_u32 s0, s16, s0
	s_addc_u32 s1, s17, s1
	global_load_dword v13, v5, s[0:1]
	v_readfirstlane_b32 s53, v12
	s_waitcnt vmcnt(0)
	v_cmp_nge_f32_e64 s[0:1], |v13|, v4
	s_and_b64 vcc, exec, s[0:1]
	s_cbranch_vccnz .LBB1_211
; %bb.165:                              ;   in Loop: Header=BB1_5 Depth=1
	s_and_saveexec_b64 s[0:1], s[8:9]
	s_cbranch_execz .LBB1_168
; %bb.166:                              ;   in Loop: Header=BB1_5 Depth=1
	v_add_u32_e32 v12, s52, v0
	v_add_u32_e32 v14, s54, v0
	v_ashrrev_i32_e32 v13, 31, v12
	v_ashrrev_i32_e32 v15, 31, v14
	v_lshl_add_u64 v[12:13], v[12:13], 2, s[16:17]
	v_lshl_add_u64 v[14:15], v[14:15], 2, s[16:17]
	s_mov_b64 s[8:9], 0
	v_mov_b32_e32 v4, v0
.LBB1_167:                              ;   Parent Loop BB1_5 Depth=1
                                        ; =>  This Inner Loop Header: Depth=2
	global_load_dword v16, v[14:15], off
	v_add_u32_e32 v4, 0x100, v4
	v_cmp_lt_i32_e32 vcc, s14, v4
	v_lshl_add_u64 v[14:15], v[14:15], 0, s[48:49]
	s_or_b64 s[8:9], vcc, s[8:9]
	s_waitcnt vmcnt(0)
	global_store_dword v[12:13], v16, off
	v_lshl_add_u64 v[12:13], v[12:13], 0, s[48:49]
	s_andn2_b64 exec, exec, s[8:9]
	s_cbranch_execnz .LBB1_167
.LBB1_168:                              ;   in Loop: Header=BB1_5 Depth=1
	s_or_b64 exec, exec, s[0:1]
	s_mov_b64 s[0:1], -1
	s_mov_b32 s8, -1
	s_barrier
	s_add_i32 s8, s8, s14
	s_add_i32 s56, s8, 1
	s_cmp_eq_u32 s53, s56
	s_cbranch_scc0 .LBB1_170
	s_branch .LBB1_185
.LBB1_169:                              ;   in Loop: Header=BB1_5 Depth=1
	s_mov_b64 s[0:1], -1
	s_mov_b32 s8, -1
	s_mov_b32 s53, s14
	s_add_i32 s8, s8, s14
	s_add_i32 s56, s8, 1
	s_cmp_eq_u32 s53, s56
	s_cbranch_scc1 .LBB1_185
.LBB1_170:                              ;   in Loop: Header=BB1_5 Depth=1
	s_and_saveexec_b64 s[12:13], s[10:11]
	s_cbranch_execz .LBB1_172
; %bb.171:                              ;   in Loop: Header=BB1_5 Depth=1
	s_mul_i32 s54, s56, s65
	s_ashr_i32 s55, s54, 31
	s_lshl_b64 s[54:55], s[54:55], 2
	s_add_u32 s54, s28, s54
	s_addc_u32 s55, s29, s55
	global_load_dword v4, v5, s[54:55]
	s_mul_i32 s54, s53, s65
	s_ashr_i32 s55, s54, 31
	s_lshl_b64 s[54:55], s[54:55], 2
	s_add_u32 s54, s28, s54
	s_addc_u32 s55, s29, s55
	s_waitcnt vmcnt(0)
	global_store_dword v5, v4, s[54:55]
.LBB1_172:                              ;   in Loop: Header=BB1_5 Depth=1
	s_or_b64 exec, exec, s[12:13]
	s_sub_i32 s57, s8, s53
	v_cmp_gt_i32_e32 vcc, s57, v0
	s_mul_i32 s9, s56, s25
	s_and_saveexec_b64 s[12:13], vcc
	s_cbranch_execz .LBB1_175
; %bb.173:                              ;   in Loop: Header=BB1_5 Depth=1
	v_add_u32_e32 v4, s53, v1
	s_add_i32 s58, s53, s9
	v_mul_lo_u32 v4, s25, v4
	v_add_u32_e32 v12, s53, v4
	s_add_i32 s58, s58, 1
	s_mov_b64 s[54:55], 0
	v_mov_b32_e32 v4, v0
.LBB1_174:                              ;   Parent Loop BB1_5 Depth=1
                                        ; =>  This Inner Loop Header: Depth=2
	v_add_u32_e32 v14, s58, v4
	v_ashrrev_i32_e32 v15, 31, v14
	v_lshl_add_u64 v[14:15], v[14:15], 2, s[28:29]
	global_load_dword v16, v[14:15], off
	v_add_u32_e32 v4, 0x100, v4
	v_ashrrev_i32_e32 v13, 31, v12
	v_cmp_le_i32_e32 vcc, s57, v4
	v_lshl_add_u64 v[14:15], v[12:13], 2, s[28:29]
	v_add_u32_e32 v12, s67, v12
	s_or_b64 s[54:55], vcc, s[54:55]
	s_waitcnt vmcnt(0)
	global_store_dword v[14:15], v16, off
	s_andn2_b64 exec, exec, s[54:55]
	s_cbranch_execnz .LBB1_174
.LBB1_175:                              ;   in Loop: Header=BB1_5 Depth=1
	s_or_b64 exec, exec, s[12:13]
	v_cmp_gt_i32_e32 vcc, s53, v0
	s_and_saveexec_b64 s[12:13], vcc
	s_cbranch_execz .LBB1_178
; %bb.176:                              ;   in Loop: Header=BB1_5 Depth=1
	s_mul_i32 s54, s53, s25
	v_add_u32_e32 v12, s54, v0
	v_add_u32_e32 v14, s9, v0
	v_ashrrev_i32_e32 v13, 31, v12
	v_ashrrev_i32_e32 v15, 31, v14
	v_lshl_add_u64 v[12:13], v[12:13], 2, s[42:43]
	v_lshl_add_u64 v[14:15], v[14:15], 2, s[42:43]
	s_mov_b64 s[54:55], 0
	v_mov_b32_e32 v4, v0
.LBB1_177:                              ;   Parent Loop BB1_5 Depth=1
                                        ; =>  This Inner Loop Header: Depth=2
	global_load_dword v16, v[14:15], off
	v_add_u32_e32 v4, 0x100, v4
	v_cmp_le_i32_e32 vcc, s53, v4
	v_lshl_add_u64 v[14:15], v[14:15], 0, s[48:49]
	s_or_b64 s[54:55], vcc, s[54:55]
	s_waitcnt vmcnt(0)
	global_store_dword v[12:13], v16, off
	v_lshl_add_u64 v[12:13], v[12:13], 0, s[48:49]
	s_andn2_b64 exec, exec, s[54:55]
	s_cbranch_execnz .LBB1_177
.LBB1_178:                              ;   in Loop: Header=BB1_5 Depth=1
	s_or_b64 exec, exec, s[12:13]
	s_not_b32 s9, s14
	s_add_i32 s57, s26, s9
	v_cmp_gt_i32_e32 vcc, s57, v0
	s_barrier
	s_and_saveexec_b64 s[12:13], vcc
	s_cbranch_execz .LBB1_181
; %bb.179:                              ;   in Loop: Header=BB1_5 Depth=1
	v_add_u32_e32 v4, s14, v1
	s_ashr_i32 s9, s8, 31
	v_mul_lo_u32 v12, s25, v4
	s_mov_b64 s[54:55], 0
	v_mov_b32_e32 v4, v0
.LBB1_180:                              ;   Parent Loop BB1_5 Depth=1
                                        ; =>  This Inner Loop Header: Depth=2
	v_add_u32_e32 v16, s53, v12
	v_ashrrev_i32_e32 v13, 31, v12
	v_ashrrev_i32_e32 v17, 31, v16
	v_lshl_add_u64 v[14:15], v[12:13], 0, s[8:9]
	v_lshl_add_u64 v[16:17], v[16:17], 2, s[28:29]
	v_lshl_add_u64 v[14:15], v[14:15], 2, s[28:29]
	global_load_dword v13, v[16:17], off
	global_load_dword v18, v[14:15], off offset:4
	v_add_u32_e32 v4, 0x100, v4
	v_cmp_le_i32_e32 vcc, s57, v4
	s_or_b64 s[54:55], vcc, s[54:55]
	v_add_u32_e32 v12, s67, v12
	s_waitcnt vmcnt(1)
	global_store_dword v[14:15], v13, off offset:4
	s_waitcnt vmcnt(1)
	global_store_dword v[16:17], v18, off
	s_andn2_b64 exec, exec, s[54:55]
	s_cbranch_execnz .LBB1_180
.LBB1_181:                              ;   in Loop: Header=BB1_5 Depth=1
	s_or_b64 exec, exec, s[12:13]
	s_sub_i32 s56, s26, s56
	v_cmp_gt_i32_e32 vcc, s56, v0
	s_and_saveexec_b64 s[12:13], vcc
	s_cbranch_execz .LBB1_184
; %bb.182:                              ;   in Loop: Header=BB1_5 Depth=1
	v_add_u32_e32 v4, s8, v3
	s_ashr_i32 s9, s8, 31
	v_mul_lo_u32 v12, s26, v4
	s_mov_b64 s[54:55], 0
	v_mov_b32_e32 v4, v0
.LBB1_183:                              ;   Parent Loop BB1_5 Depth=1
                                        ; =>  This Inner Loop Header: Depth=2
	v_add_u32_e32 v16, s53, v12
	v_ashrrev_i32_e32 v13, 31, v12
	v_ashrrev_i32_e32 v17, 31, v16
	v_lshl_add_u64 v[14:15], v[12:13], 0, s[8:9]
	v_lshl_add_u64 v[16:17], v[16:17], 2, s[16:17]
	;; [unrolled: 1-line block ×3, first 2 shown]
	global_load_dword v13, v[16:17], off
	global_load_dword v18, v[14:15], off offset:4
	v_add_u32_e32 v4, 0x100, v4
	v_cmp_le_i32_e32 vcc, s56, v4
	s_or_b64 s[54:55], vcc, s[54:55]
	v_add_u32_e32 v12, s68, v12
	s_waitcnt vmcnt(1)
	global_store_dword v[14:15], v13, off offset:4
	s_waitcnt vmcnt(1)
	global_store_dword v[16:17], v18, off
	s_andn2_b64 exec, exec, s[54:55]
	s_cbranch_execnz .LBB1_183
.LBB1_184:                              ;   in Loop: Header=BB1_5 Depth=1
	s_or_b64 exec, exec, s[12:13]
	s_barrier
.LBB1_185:                              ;   in Loop: Header=BB1_5 Depth=1
	s_xor_b64 s[0:1], s[0:1], -1
	s_mov_b64 s[8:9], -1
	s_and_b64 vcc, exec, s[0:1]
	s_cbranch_vccz .LBB1_194
; %bb.186:                              ;   in Loop: Header=BB1_5 Depth=1
	s_cmp_lt_i32 s14, 2
	s_cbranch_scc1 .LBB1_191
; %bb.187:                              ;   in Loop: Header=BB1_5 Depth=1
	s_add_i32 s54, s14, -2
	v_cmp_ge_i32_e32 vcc, s54, v0
	s_and_saveexec_b64 s[8:9], vcc
	s_cbranch_execz .LBB1_190
; %bb.188:                              ;   in Loop: Header=BB1_5 Depth=1
	s_add_i32 s55, s14, -1
	s_ashr_i32 s1, s52, 31
	s_ashr_i32 s56, s14, 31
	s_add_u32 s0, s52, s14
	s_addc_u32 s1, s1, s56
	s_lshl_b64 s[0:1], s[0:1], 2
	s_add_u32 s0, s16, s0
	s_addc_u32 s1, s17, s1
	s_add_i32 s12, s52, s14
	s_ashr_i32 s13, s12, 31
	s_lshl_b64 s[12:13], s[12:13], 2
	s_add_u32 s12, s16, s12
	s_addc_u32 s13, s17, s13
	global_load_dword v22, v5, s[0:1] offset:-4
	global_load_dword v4, v5, s[12:13]
	s_add_i32 s0, s70, -1
	s_mul_i32 s57, s0, s26
	s_ashr_i32 s1, s57, 31
	s_add_u32 s0, s57, s14
	s_addc_u32 s1, s1, s56
	s_lshl_b64 s[0:1], s[0:1], 2
	s_add_u32 s0, s16, s0
	s_addc_u32 s1, s17, s1
	global_load_dword v21, v5, s[0:1] offset:-4
	s_mul_i32 s0, s14, s25
	v_add_u32_e32 v14, s0, v0
	s_mul_i32 s55, s55, s25
	v_add_u32_e32 v12, s52, v0
	v_add_u32_e32 v16, s55, v0
	;; [unrolled: 1-line block ×3, first 2 shown]
	v_ashrrev_i32_e32 v13, 31, v12
	v_ashrrev_i32_e32 v15, 31, v14
	;; [unrolled: 1-line block ×4, first 2 shown]
	s_mov_b64 s[12:13], 0
	v_lshl_add_u64 v[12:13], v[12:13], 2, s[16:17]
	v_lshl_add_u64 v[14:15], v[14:15], 2, s[42:43]
	;; [unrolled: 1-line block ×4, first 2 shown]
	s_waitcnt vmcnt(1)
	v_div_scale_f32 v23, s[0:1], v22, v22, v4
	v_rcp_f32_e32 v24, v23
	v_div_scale_f32 v25, vcc, v4, v22, v4
	v_fma_f32 v26, -v23, v24, 1.0
	v_fmac_f32_e32 v24, v26, v24
	v_mul_f32_e32 v26, v25, v24
	s_waitcnt vmcnt(0)
	v_div_scale_f32 v27, s[0:1], v22, v22, v21
	v_fma_f32 v29, -v23, v26, v25
	v_rcp_f32_e32 v30, v27
	v_fmac_f32_e32 v26, v29, v24
	v_fma_f32 v23, -v23, v26, v25
	v_div_fmas_f32 v23, v23, v24, v26
	v_div_fixup_f32 v4, v23, v22, v4
	v_fma_f32 v23, -v27, v30, 1.0
	v_div_scale_f32 v28, s[0:1], v21, v22, v21
	v_fmac_f32_e32 v30, v23, v30
	v_mul_f32_e32 v23, v28, v30
	v_fma_f32 v24, -v27, v23, v28
	v_fmac_f32_e32 v23, v24, v30
	v_fma_f32 v24, -v27, v23, v28
	s_mov_b64 vcc, s[0:1]
	v_div_fmas_f32 v23, v24, v30, v23
	v_div_fixup_f32 v21, v23, v22, v21
	v_fma_f32 v23, v4, v21, -1.0
	v_mul_f32_e32 v22, v22, v23
	v_div_scale_f32 v23, s[0:1], v22, v22, 1.0
	v_rcp_f32_e32 v24, v23
	v_div_scale_f32 v25, vcc, 1.0, v22, 1.0
	v_fma_f32 v26, -v23, v24, 1.0
	v_fmac_f32_e32 v24, v26, v24
	v_mul_f32_e32 v26, v25, v24
	v_fma_f32 v27, -v23, v26, v25
	v_fmac_f32_e32 v26, v27, v24
	v_fma_f32 v23, -v23, v26, v25
	v_div_fmas_f32 v23, v23, v24, v26
	v_div_fixup_f32 v22, v23, v22, 1.0
	v_mov_b32_e32 v23, v0
.LBB1_189:                              ;   Parent Loop BB1_5 Depth=1
                                        ; =>  This Inner Loop Header: Depth=2
	global_load_dword v24, v[18:19], off
	global_load_dword v25, v[12:13], off
	v_add_u32_e32 v23, 0x100, v23
	v_cmp_lt_i32_e32 vcc, s54, v23
	s_or_b64 s[12:13], vcc, s[12:13]
	s_waitcnt vmcnt(0)
	v_fma_f32 v24, v4, v24, -v25
	v_mul_f32_e32 v24, v22, v24
	global_store_dword v[16:17], v24, off
	global_load_dword v24, v[12:13], off
	s_nop 0
	global_load_dword v25, v[18:19], off
	v_lshl_add_u64 v[16:17], v[16:17], 0, s[48:49]
	v_lshl_add_u64 v[12:13], v[12:13], 0, s[48:49]
	;; [unrolled: 1-line block ×3, first 2 shown]
	s_waitcnt vmcnt(0)
	v_fma_f32 v24, v21, v24, -v25
	v_mul_f32_e32 v24, v22, v24
	global_store_dword v[14:15], v24, off
	v_lshl_add_u64 v[14:15], v[14:15], 0, s[48:49]
	s_andn2_b64 exec, exec, s[12:13]
	s_cbranch_execnz .LBB1_189
.LBB1_190:                              ;   in Loop: Header=BB1_5 Depth=1
	s_or_b64 exec, exec, s[8:9]
.LBB1_191:                              ;   in Loop: Header=BB1_5 Depth=1
	s_and_saveexec_b64 s[0:1], s[10:11]
	s_cbranch_execz .LBB1_193
; %bb.192:                              ;   in Loop: Header=BB1_5 Depth=1
	s_add_i32 s8, s70, -1
	s_mul_i32 s8, s8, s26
	s_add_i32 s12, s14, -1
	s_ashr_i32 s9, s8, 31
	s_ashr_i32 s54, s14, 31
	s_add_u32 s8, s8, s14
	s_addc_u32 s9, s9, s54
	s_lshl_b64 s[8:9], s[8:9], 2
	s_add_u32 s8, s16, s8
	s_addc_u32 s9, s17, s9
	global_load_dword v4, v5, s[8:9] offset:-4
	s_mul_i32 s8, s12, s65
	s_ashr_i32 s9, s8, 31
	s_lshl_b64 s[8:9], s[8:9], 2
	s_add_u32 s8, s28, s8
	s_addc_u32 s9, s29, s9
	s_ashr_i32 s13, s52, 31
	s_add_u32 s12, s52, s14
	s_addc_u32 s13, s13, s54
	s_lshl_b64 s[12:13], s[12:13], 2
	s_add_u32 s12, s16, s12
	s_addc_u32 s13, s17, s13
	s_mul_i32 s55, s14, s25
	s_waitcnt vmcnt(0)
	global_store_dword v5, v4, s[8:9]
	global_load_dword v4, v5, s[12:13] offset:-4
	s_ashr_i32 s9, s55, 31
	s_add_u32 s8, s14, s55
	s_addc_u32 s9, s54, s9
	s_lshl_b64 s[8:9], s[8:9], 2
	s_add_u32 s8, s28, s8
	s_addc_u32 s9, s29, s9
	s_add_i32 s12, s52, s14
	s_ashr_i32 s13, s12, 31
	s_lshl_b64 s[12:13], s[12:13], 2
	s_add_u32 s12, s16, s12
	s_addc_u32 s13, s17, s13
	s_waitcnt vmcnt(0)
	global_store_dword v5, v4, s[8:9] offset:-4
	global_load_dword v4, v5, s[12:13]
	s_add_i32 s8, s55, s14
	s_ashr_i32 s9, s8, 31
	s_lshl_b64 s[8:9], s[8:9], 2
	s_add_u32 s8, s28, s8
	s_addc_u32 s9, s29, s9
	s_waitcnt vmcnt(0)
	global_store_dword v5, v4, s[8:9]
.LBB1_193:                              ;   in Loop: Header=BB1_5 Depth=1
	s_or_b64 exec, exec, s[0:1]
	s_mov_b64 s[8:9], 0
	s_barrier
.LBB1_194:                              ;   in Loop: Header=BB1_5 Depth=1
	s_mov_b64 s[0:1], 0
	s_mov_b32 s12, -2
	s_and_b64 vcc, exec, s[8:9]
	s_mov_b64 s[8:9], 0
	s_cbranch_vccz .LBB1_201
; %bb.195:                              ;   in Loop: Header=BB1_5 Depth=1
	s_add_i32 s8, s52, s14
	s_ashr_i32 s9, s8, 31
	s_lshl_b64 s[8:9], s[8:9], 2
	s_add_u32 s8, s16, s8
	s_addc_u32 s9, s17, s9
	global_load_dword v4, v5, s[8:9]
	s_and_saveexec_b64 s[8:9], s[10:11]
	s_cbranch_execz .LBB1_197
; %bb.196:                              ;   in Loop: Header=BB1_5 Depth=1
	s_mul_i32 s12, s14, s65
	s_ashr_i32 s13, s12, 31
	s_lshl_b64 s[12:13], s[12:13], 2
	s_add_u32 s12, s28, s12
	s_addc_u32 s13, s29, s13
	s_waitcnt vmcnt(0)
	global_store_dword v5, v4, s[12:13]
.LBB1_197:                              ;   in Loop: Header=BB1_5 Depth=1
	s_or_b64 exec, exec, s[8:9]
	s_and_saveexec_b64 s[8:9], s[6:7]
	s_cbranch_execz .LBB1_200
; %bb.198:                              ;   in Loop: Header=BB1_5 Depth=1
	s_waitcnt vmcnt(0)
	v_div_scale_f32 v12, s[6:7], v4, v4, 1.0
	v_rcp_f32_e32 v13, v12
	v_div_scale_f32 v14, vcc, 1.0, v4, 1.0
	s_mul_i32 s6, s14, s25
	v_fma_f32 v15, -v12, v13, 1.0
	v_fmac_f32_e32 v13, v15, v13
	v_mul_f32_e32 v15, v14, v13
	v_fma_f32 v16, -v12, v15, v14
	v_fmac_f32_e32 v15, v16, v13
	v_fma_f32 v12, -v12, v15, v14
	v_div_fmas_f32 v12, v12, v13, v15
	v_div_fixup_f32 v4, v12, v4, 1.0
	v_add_u32_e32 v12, s6, v0
	v_add_u32_e32 v14, s52, v0
	v_ashrrev_i32_e32 v13, 31, v12
	v_ashrrev_i32_e32 v15, 31, v14
	v_lshl_add_u64 v[12:13], v[12:13], 2, s[42:43]
	v_lshl_add_u64 v[14:15], v[14:15], 2, s[16:17]
	s_mov_b64 s[6:7], 0
	v_mov_b32_e32 v16, v0
.LBB1_199:                              ;   Parent Loop BB1_5 Depth=1
                                        ; =>  This Inner Loop Header: Depth=2
	global_load_dword v17, v[14:15], off
	v_add_u32_e32 v16, 0x100, v16
	v_cmp_le_i32_e32 vcc, s14, v16
	v_lshl_add_u64 v[14:15], v[14:15], 0, s[48:49]
	s_or_b64 s[6:7], vcc, s[6:7]
	s_waitcnt vmcnt(0)
	v_mul_f32_e32 v17, v4, v17
	global_store_dword v[12:13], v17, off
	v_lshl_add_u64 v[12:13], v[12:13], 0, s[48:49]
	s_andn2_b64 exec, exec, s[6:7]
	s_cbranch_execnz .LBB1_199
.LBB1_200:                              ;   in Loop: Header=BB1_5 Depth=1
	s_or_b64 exec, exec, s[8:9]
	s_barrier
	s_mov_b64 s[8:9], -1
	s_mov_b32 s12, -1
.LBB1_201:                              ;   in Loop: Header=BB1_5 Depth=1
	s_and_b64 vcc, exec, s[0:1]
	s_cbranch_vccz .LBB1_205
; %bb.202:                              ;   in Loop: Header=BB1_5 Depth=1
	s_waitcnt vmcnt(0)
	ds_read_b32 v4, v5 offset:2052
	s_waitcnt lgkmcnt(0)
	v_readfirstlane_b32 s0, v4
	s_cmp_eq_u32 s0, 0
	s_cselect_b64 s[0:1], -1, 0
	s_and_b64 s[6:7], s[10:11], s[0:1]
	s_and_saveexec_b64 s[0:1], s[6:7]
; %bb.203:                              ;   in Loop: Header=BB1_5 Depth=1
	s_add_i32 s6, s14, 1
	v_mov_b32_e32 v4, s6
	ds_write_b32 v5, v4 offset:2052
; %bb.204:                              ;   in Loop: Header=BB1_5 Depth=1
	s_or_b64 exec, exec, s[0:1]
	s_mov_b32 s12, -1
	s_mov_b64 s[8:9], -1
	s_mov_b32 s53, s14
.LBB1_205:                              ;   in Loop: Header=BB1_5 Depth=1
	s_and_saveexec_b64 s[0:1], s[10:11]
	s_cbranch_execz .LBB1_210
; %bb.206:                              ;   in Loop: Header=BB1_5 Depth=1
	s_xor_b64 s[54:55], s[8:9], -1
	s_lshl_b64 s[6:7], s[14:15], 2
	s_add_u32 s6, s24, s6
	s_addc_u32 s7, s33, s7
	s_mov_b64 s[8:9], -1
	s_and_b64 vcc, exec, s[54:55]
	s_cbranch_vccz .LBB1_208
; %bb.207:                              ;   in Loop: Header=BB1_5 Depth=1
	s_not_b32 s8, s53
	v_mov_b32_e32 v12, s8
	v_mov_b32_e32 v13, s8
	global_store_dwordx2 v5, v[12:13], s[6:7] offset:-4
	s_mov_b64 s[8:9], 0
.LBB1_208:                              ;   in Loop: Header=BB1_5 Depth=1
	s_andn2_b64 vcc, exec, s[8:9]
	s_cbranch_vccnz .LBB1_210
; %bb.209:                              ;   in Loop: Header=BB1_5 Depth=1
	s_add_i32 s8, s53, 1
	s_waitcnt vmcnt(0)
	v_mov_b32_e32 v4, s8
	global_store_dword v5, v4, s[6:7]
.LBB1_210:                              ;   in Loop: Header=BB1_5 Depth=1
	s_or_b64 exec, exec, s[0:1]
	s_add_i32 s14, s12, s14
	s_add_i32 s70, s14, s63
	s_cmp_lt_i32 s14, 0
	s_cselect_b64 s[0:1], -1, 0
	s_and_b64 vcc, exec, s[0:1]
	s_cbranch_vccz .LBB1_5
	s_branch .LBB1_212
.LBB1_211:                              ;   in Loop: Header=BB1_5 Depth=1
	s_mov_b64 s[0:1], 0
	s_mov_b32 s8, -2
	s_add_i32 s8, s8, s14
	s_add_i32 s56, s8, 1
	s_cmp_eq_u32 s53, s56
	s_cbranch_scc0 .LBB1_170
	s_branch .LBB1_185
.LBB1_212:
	s_add_i32 s4, s70, 1
.LBB1_213:
	s_and_saveexec_b64 s[0:1], s[10:11]
	s_cbranch_execz .LBB1_215
; %bb.214:
	s_lshl_b64 s[2:3], s[40:41], 2
	s_add_u32 s6, s20, s2
	s_addc_u32 s7, s21, s3
	v_mov_b32_e32 v3, 0
	s_add_u32 s2, s18, s2
	s_waitcnt vmcnt(0)
	ds_read_b32 v4, v3 offset:2052
	s_addc_u32 s3, s19, s3
	s_not_b32 s5, s14
	s_add_i32 s5, s26, s5
	v_mov_b32_e32 v5, s5
	global_store_dword v3, v5, s[6:7]
	s_waitcnt lgkmcnt(0)
	global_store_dword v3, v4, s[2:3]
.LBB1_215:
	s_or_b64 exec, exec, s[0:1]
	s_abs_i32 s0, s27
	v_cvt_f32_u32_e32 v3, s0
	s_sub_i32 s3, 0, s0
	s_abs_i32 s2, s14
	s_ashr_i32 s1, s14, 31
	v_rcp_iflag_f32_e32 v3, v3
	s_nop 0
	v_mul_f32_e32 v3, 0x4f7ffffe, v3
	v_cvt_u32_f32_e32 v3, v3
	s_nop 0
	v_readfirstlane_b32 s5, v3
	s_mul_i32 s3, s3, s5
	s_mul_hi_u32 s3, s5, s3
	s_add_i32 s5, s5, s3
	s_mul_hi_u32 s3, s2, s5
	s_mul_i32 s3, s3, s0
	s_sub_i32 s2, s2, s3
	s_sub_i32 s3, s2, s0
	s_cmp_ge_u32 s2, s0
	s_cselect_b32 s2, s3, s2
	s_sub_i32 s3, s2, s0
	s_cmp_ge_u32 s2, s0
	s_cselect_b32 s0, s3, s2
	s_xor_b32 s0, s0, s1
	s_sub_i32 s0, s1, s0
	s_add_i32 s2, s14, s0
	s_add_i32 s0, s14, 1
	s_cmp_lt_i32 s2, 0
	s_mov_b32 s3, 0
	s_cbranch_scc1 .LBB1_234
; %bb.216:
	s_not_b32 s1, s14
	s_mul_i32 s6, s0, s25
	s_mul_i32 s8, s4, s26
	s_add_i32 s1, s26, s1
	s_ashr_i32 s7, s6, 31
	s_ashr_i32 s9, s8, 31
	s_cmp_gt_i32 s1, 0
	s_cselect_b64 s[4:5], -1, 0
	s_lshl_b64 s[10:11], s[6:7], 2
	s_add_u32 s6, s28, s10
	s_addc_u32 s7, s29, s11
	s_lshl_b64 s[12:13], s[38:39], 2
	s_lshl_b64 s[8:9], s[8:9], 2
	s_add_u32 s8, s12, s8
	s_addc_u32 s9, s13, s9
	s_add_u32 s38, s30, s8
	s_addc_u32 s39, s31, s9
	s_ashr_i32 s9, s26, 31
	s_mov_b32 s8, s26
	s_lshl_b64 s[8:9], s[8:9], 2
	s_add_u32 s12, s34, s36
	s_addc_u32 s13, s35, s37
	s_add_u32 s10, s12, s10
	s_addc_u32 s11, s13, s11
	s_add_u32 s10, s22, s10
	v_mov_b32_e32 v3, 0
	s_addc_u32 s11, s23, s11
	s_waitcnt vmcnt(0)
	v_lshl_add_u64 v[4:5], s[10:11], 0, v[2:3]
	s_ashr_i32 s11, s25, 31
	s_mov_b32 s10, s25
	s_lshl_b64 s[10:11], s[10:11], 2
	s_mov_b64 s[12:13], 0x400
	s_branch .LBB1_218
.LBB1_217:                              ;   in Loop: Header=BB1_218 Depth=1
	s_or_b64 exec, exec, s[16:17]
	s_sub_i32 s2, s2, s27
	s_cmp_gt_i32 s2, -1
	s_cbranch_scc0 .LBB1_234
.LBB1_218:                              ; =>This Loop Header: Depth=1
                                        ;     Child Loop BB1_221 Depth 2
                                        ;       Child Loop BB1_224 Depth 3
                                        ;         Child Loop BB1_226 Depth 4
                                        ;     Child Loop BB1_231 Depth 2
                                        ;       Child Loop BB1_233 Depth 3
	s_lshl_b64 s[16:17], s[2:3], 2
	s_add_u32 s14, s38, s16
	s_addc_u32 s15, s39, s17
	s_sub_i32 s18, s0, s2
	s_min_i32 s34, s18, s27
	s_cmp_lt_i32 s34, 1
	s_cbranch_scc1 .LBB1_227
; %bb.219:                              ;   in Loop: Header=BB1_218 Depth=1
	s_add_i32 s35, s34, s2
	s_add_u32 s36, s28, s16
	v_lshl_add_u64 v[6:7], v[4:5], 0, s[16:17]
	s_addc_u32 s37, s29, s17
	s_mov_b64 s[16:17], s[14:15]
	s_mov_b32 s40, s2
	s_branch .LBB1_221
.LBB1_220:                              ;   in Loop: Header=BB1_221 Depth=2
	s_or_b64 exec, exec, s[18:19]
	s_add_i32 s40, s40, 1
	s_add_u32 s16, s16, 4
	s_addc_u32 s17, s17, 0
	s_cmp_lt_i32 s40, s35
	s_cbranch_scc0 .LBB1_227
.LBB1_221:                              ;   Parent Loop BB1_218 Depth=1
                                        ; =>  This Loop Header: Depth=2
                                        ;       Child Loop BB1_224 Depth 3
                                        ;         Child Loop BB1_226 Depth 4
	s_sub_i32 s41, s40, s2
	v_cmp_ge_i32_e32 vcc, s41, v0
	s_and_saveexec_b64 s[18:19], vcc
	s_cbranch_execz .LBB1_220
; %bb.222:                              ;   in Loop: Header=BB1_221 Depth=2
	s_mul_i32 s20, s40, s25
	s_ashr_i32 s21, s20, 31
	s_lshl_b64 s[20:21], s[20:21], 2
	s_add_u32 s20, s36, s20
	s_addc_u32 s21, s37, s21
	s_mov_b64 s[22:23], 0
	v_mov_b64_e32 v[8:9], v[6:7]
	v_mov_b32_e32 v2, v0
	s_branch .LBB1_224
.LBB1_223:                              ;   in Loop: Header=BB1_224 Depth=3
	v_lshl_add_u64 v[10:11], v[2:3], 2, s[20:21]
	global_load_dword v13, v[10:11], off
	v_add_u32_e32 v2, 0x100, v2
	v_cmp_lt_i32_e32 vcc, s41, v2
	s_or_b64 s[22:23], vcc, s[22:23]
	v_lshl_add_u64 v[8:9], v[8:9], 0, s[12:13]
	s_waitcnt vmcnt(0)
	v_sub_f32_e32 v12, v13, v12
	global_store_dword v[10:11], v12, off
	s_andn2_b64 exec, exec, s[22:23]
	s_cbranch_execz .LBB1_220
.LBB1_224:                              ;   Parent Loop BB1_218 Depth=1
                                        ;     Parent Loop BB1_221 Depth=2
                                        ; =>    This Loop Header: Depth=3
                                        ;         Child Loop BB1_226 Depth 4
	v_mov_b32_e32 v12, 0
	s_andn2_b64 vcc, exec, s[4:5]
	s_cbranch_vccnz .LBB1_223
; %bb.225:                              ;   in Loop: Header=BB1_224 Depth=3
	v_mov_b64_e32 v[10:11], v[8:9]
	s_mov_b64 s[30:31], s[16:17]
	s_mov_b32 s42, s1
.LBB1_226:                              ;   Parent Loop BB1_218 Depth=1
                                        ;     Parent Loop BB1_221 Depth=2
                                        ;       Parent Loop BB1_224 Depth=3
                                        ; =>      This Inner Loop Header: Depth=4
	global_load_dword v13, v[10:11], off
	global_load_dword v14, v3, s[30:31]
	s_add_i32 s42, s42, -1
	s_add_u32 s30, s30, s8
	s_addc_u32 s31, s31, s9
	v_lshl_add_u64 v[10:11], v[10:11], 0, s[10:11]
	s_cmp_eq_u32 s42, 0
	s_waitcnt vmcnt(0)
	v_fmac_f32_e32 v12, v13, v14
	s_cbranch_scc0 .LBB1_226
	s_branch .LBB1_223
.LBB1_227:                              ;   in Loop: Header=BB1_218 Depth=1
	s_mul_i32 s22, s34, s2
	v_cmp_gt_i32_e32 vcc, s22, v0
	s_and_saveexec_b64 s[16:17], vcc
	s_cbranch_execz .LBB1_217
; %bb.228:                              ;   in Loop: Header=BB1_218 Depth=1
	v_cvt_f32_u32_e32 v2, s2
	s_mul_i32 s20, s2, s25
	s_ashr_i32 s21, s20, 31
	s_lshl_b64 s[20:21], s[20:21], 2
	v_rcp_iflag_f32_e32 v2, v2
	s_add_u32 s20, s28, s20
	s_addc_u32 s21, s29, s21
	s_sub_i32 s23, 0, s2
	v_mul_f32_e32 v2, 0x4f7ffffe, v2
	v_cvt_u32_f32_e32 v2, v2
	s_mov_b64 s[18:19], 0
	v_mov_b32_e32 v13, v0
	v_mul_lo_u32 v6, s23, v2
	v_mul_hi_u32 v6, v2, v6
	v_add_u32_e32 v12, v2, v6
	s_branch .LBB1_231
.LBB1_229:                              ;   in Loop: Header=BB1_231 Depth=2
	v_mov_b32_e32 v7, 0
.LBB1_230:                              ;   in Loop: Header=BB1_231 Depth=2
	v_mad_u64_u32 v[8:9], s[30:31], v6, s25, v[2:3]
	v_ashrrev_i32_e32 v9, 31, v8
	v_lshl_add_u64 v[8:9], v[8:9], 2, s[20:21]
	global_load_dword v2, v[8:9], off
	v_add_u32_e32 v13, 0x100, v13
	v_cmp_le_i32_e32 vcc, s22, v13
	s_or_b64 s[18:19], vcc, s[18:19]
	s_waitcnt vmcnt(0)
	v_sub_f32_e32 v2, v2, v7
	global_store_dword v[8:9], v2, off
	s_andn2_b64 exec, exec, s[18:19]
	s_cbranch_execz .LBB1_217
.LBB1_231:                              ;   Parent Loop BB1_218 Depth=1
                                        ; =>  This Loop Header: Depth=2
                                        ;       Child Loop BB1_233 Depth 3
	v_mul_hi_u32 v2, v13, v12
	v_mul_lo_u32 v6, v2, s2
	v_sub_u32_e32 v6, v13, v6
	v_add_u32_e32 v7, 1, v2
	v_cmp_le_u32_e32 vcc, s2, v6
	s_nop 1
	v_cndmask_b32_e32 v2, v2, v7, vcc
	v_subrev_u32_e32 v7, s2, v6
	v_cndmask_b32_e32 v6, v6, v7, vcc
	v_add_u32_e32 v7, 1, v2
	v_cmp_le_u32_e32 vcc, s2, v6
	s_nop 1
	v_cndmask_b32_e32 v6, v2, v7, vcc
	v_mul_lo_u32 v2, v6, s2
	s_andn2_b64 vcc, exec, s[4:5]
	v_sub_u32_e32 v2, v13, v2
	s_cbranch_vccnz .LBB1_229
; %bb.232:                              ;   in Loop: Header=BB1_231 Depth=2
	v_ashrrev_i32_e32 v7, 31, v6
	v_lshl_add_u64 v[8:9], v[6:7], 2, s[14:15]
	v_mov_b32_e32 v7, 0
	v_mov_b32_e32 v10, v2
	s_mov_b32 s23, s1
.LBB1_233:                              ;   Parent Loop BB1_218 Depth=1
                                        ;     Parent Loop BB1_231 Depth=2
                                        ; =>    This Inner Loop Header: Depth=3
	v_ashrrev_i32_e32 v11, 31, v10
	v_lshl_add_u64 v[14:15], v[10:11], 2, s[6:7]
	global_load_dword v16, v[8:9], off
	global_load_dword v11, v[14:15], off
	s_add_i32 s23, s23, -1
	v_lshl_add_u64 v[8:9], v[8:9], 0, s[8:9]
	v_add_u32_e32 v10, s25, v10
	s_cmp_eq_u32 s23, 0
	s_waitcnt vmcnt(0)
	v_fmac_f32_e32 v7, v11, v16
	s_cbranch_scc0 .LBB1_233
	s_branch .LBB1_230
.LBB1_234:
	s_cmp_ge_i32 s0, s62
	s_waitcnt lgkmcnt(0)
	s_barrier
	s_cbranch_scc1 .LBB1_242
; %bb.235:
	s_lshl_b32 s6, s25, 8
	v_mov_b32_e32 v2, 0
	s_branch .LBB1_238
.LBB1_236:                              ;   in Loop: Header=BB1_238 Depth=1
	s_or_b64 exec, exec, s[2:3]
	s_barrier
.LBB1_237:                              ;   in Loop: Header=BB1_238 Depth=1
	s_cmp_lt_i32 s1, s62
	s_mov_b32 s0, s1
	s_cbranch_scc0 .LBB1_242
.LBB1_238:                              ; =>This Loop Header: Depth=1
                                        ;     Child Loop BB1_241 Depth 2
	s_ashr_i32 s1, s0, 31
	s_lshl_b64 s[2:3], s[0:1], 2
	s_add_u32 s2, s24, s2
	s_addc_u32 s3, s33, s3
	global_load_dword v3, v2, s[2:3]
	s_waitcnt vmcnt(0)
	v_readfirstlane_b32 s1, v3
	s_not_b32 s2, s1
	s_add_i32 s3, s1, -1
	s_cmp_lt_i32 s1, 0
	s_cselect_b32 s7, s2, s3
	s_lshr_b32 s1, s1, 31
	s_add_i32 s4, s0, s1
	s_add_i32 s1, s4, 1
	s_cmp_eq_u32 s7, s0
	s_cselect_b64 s[2:3], -1, 0
	s_cmp_le_i32 s26, s1
	s_cselect_b64 s[8:9], -1, 0
	s_or_b64 s[2:3], s[2:3], s[8:9]
	s_and_b64 vcc, exec, s[2:3]
	s_cbranch_vccnz .LBB1_237
; %bb.239:                              ;   in Loop: Header=BB1_238 Depth=1
	s_sub_i32 s8, s26, s1
	v_cmp_gt_i32_e32 vcc, s8, v0
	s_and_saveexec_b64 s[2:3], vcc
	s_cbranch_execz .LBB1_236
; %bb.240:                              ;   in Loop: Header=BB1_238 Depth=1
	v_add_u32_e32 v3, s4, v1
	v_mul_lo_u32 v3, s25, v3
	s_mov_b64 s[4:5], 0
	v_mov_b32_e32 v4, v0
.LBB1_241:                              ;   Parent Loop BB1_238 Depth=1
                                        ; =>  This Inner Loop Header: Depth=2
	v_add_u32_e32 v8, s0, v3
	v_add_u32_e32 v6, s7, v3
	v_ashrrev_i32_e32 v9, 31, v8
	v_ashrrev_i32_e32 v7, 31, v6
	v_lshl_add_u64 v[8:9], v[8:9], 2, s[28:29]
	v_lshl_add_u64 v[6:7], v[6:7], 2, s[28:29]
	global_load_dword v5, v[8:9], off
	global_load_dword v10, v[6:7], off
	v_add_u32_e32 v4, 0x100, v4
	v_cmp_le_i32_e32 vcc, s8, v4
	v_add_u32_e32 v3, s6, v3
	s_or_b64 s[4:5], vcc, s[4:5]
	s_waitcnt vmcnt(1)
	global_store_dword v[6:7], v5, off
	s_waitcnt vmcnt(1)
	global_store_dword v[8:9], v10, off
	s_andn2_b64 exec, exec, s[4:5]
	s_cbranch_execnz .LBB1_241
	s_branch .LBB1_236
.LBB1_242:
	s_endpgm
	.section	.rodata,"a",@progbits
	.p2align	6, 0x0
	.amdhsa_kernel _ZN9rocsolver6v33100L18lasyf_kernel_upperIfPfEEviiPiT0_iilS3_lS3_PT_
		.amdhsa_group_segment_fixed_size 2068
		.amdhsa_private_segment_fixed_size 0
		.amdhsa_kernarg_size 72
		.amdhsa_user_sgpr_count 2
		.amdhsa_user_sgpr_dispatch_ptr 0
		.amdhsa_user_sgpr_queue_ptr 0
		.amdhsa_user_sgpr_kernarg_segment_ptr 1
		.amdhsa_user_sgpr_dispatch_id 0
		.amdhsa_user_sgpr_kernarg_preload_length 0
		.amdhsa_user_sgpr_kernarg_preload_offset 0
		.amdhsa_user_sgpr_private_segment_size 0
		.amdhsa_uses_dynamic_stack 0
		.amdhsa_enable_private_segment 0
		.amdhsa_system_sgpr_workgroup_id_x 1
		.amdhsa_system_sgpr_workgroup_id_y 1
		.amdhsa_system_sgpr_workgroup_id_z 0
		.amdhsa_system_sgpr_workgroup_info 0
		.amdhsa_system_vgpr_workitem_id 0
		.amdhsa_next_free_vgpr 31
		.amdhsa_next_free_sgpr 73
		.amdhsa_accum_offset 32
		.amdhsa_reserve_vcc 1
		.amdhsa_float_round_mode_32 0
		.amdhsa_float_round_mode_16_64 0
		.amdhsa_float_denorm_mode_32 3
		.amdhsa_float_denorm_mode_16_64 3
		.amdhsa_dx10_clamp 1
		.amdhsa_ieee_mode 1
		.amdhsa_fp16_overflow 0
		.amdhsa_tg_split 0
		.amdhsa_exception_fp_ieee_invalid_op 0
		.amdhsa_exception_fp_denorm_src 0
		.amdhsa_exception_fp_ieee_div_zero 0
		.amdhsa_exception_fp_ieee_overflow 0
		.amdhsa_exception_fp_ieee_underflow 0
		.amdhsa_exception_fp_ieee_inexact 0
		.amdhsa_exception_int_div_zero 0
	.end_amdhsa_kernel
	.section	.text._ZN9rocsolver6v33100L18lasyf_kernel_upperIfPfEEviiPiT0_iilS3_lS3_PT_,"axG",@progbits,_ZN9rocsolver6v33100L18lasyf_kernel_upperIfPfEEviiPiT0_iilS3_lS3_PT_,comdat
.Lfunc_end1:
	.size	_ZN9rocsolver6v33100L18lasyf_kernel_upperIfPfEEviiPiT0_iilS3_lS3_PT_, .Lfunc_end1-_ZN9rocsolver6v33100L18lasyf_kernel_upperIfPfEEviiPiT0_iilS3_lS3_PT_
                                        ; -- End function
	.set _ZN9rocsolver6v33100L18lasyf_kernel_upperIfPfEEviiPiT0_iilS3_lS3_PT_.num_vgpr, 31
	.set _ZN9rocsolver6v33100L18lasyf_kernel_upperIfPfEEviiPiT0_iilS3_lS3_PT_.num_agpr, 0
	.set _ZN9rocsolver6v33100L18lasyf_kernel_upperIfPfEEviiPiT0_iilS3_lS3_PT_.numbered_sgpr, 73
	.set _ZN9rocsolver6v33100L18lasyf_kernel_upperIfPfEEviiPiT0_iilS3_lS3_PT_.num_named_barrier, 0
	.set _ZN9rocsolver6v33100L18lasyf_kernel_upperIfPfEEviiPiT0_iilS3_lS3_PT_.private_seg_size, 0
	.set _ZN9rocsolver6v33100L18lasyf_kernel_upperIfPfEEviiPiT0_iilS3_lS3_PT_.uses_vcc, 1
	.set _ZN9rocsolver6v33100L18lasyf_kernel_upperIfPfEEviiPiT0_iilS3_lS3_PT_.uses_flat_scratch, 0
	.set _ZN9rocsolver6v33100L18lasyf_kernel_upperIfPfEEviiPiT0_iilS3_lS3_PT_.has_dyn_sized_stack, 0
	.set _ZN9rocsolver6v33100L18lasyf_kernel_upperIfPfEEviiPiT0_iilS3_lS3_PT_.has_recursion, 0
	.set _ZN9rocsolver6v33100L18lasyf_kernel_upperIfPfEEviiPiT0_iilS3_lS3_PT_.has_indirect_call, 0
	.section	.AMDGPU.csdata,"",@progbits
; Kernel info:
; codeLenInByte = 8740
; TotalNumSgprs: 79
; NumVgprs: 31
; NumAgprs: 0
; TotalNumVgprs: 31
; ScratchSize: 0
; MemoryBound: 0
; FloatMode: 240
; IeeeMode: 1
; LDSByteSize: 2068 bytes/workgroup (compile time only)
; SGPRBlocks: 9
; VGPRBlocks: 3
; NumSGPRsForWavesPerEU: 79
; NumVGPRsForWavesPerEU: 31
; AccumOffset: 32
; Occupancy: 8
; WaveLimiterHint : 1
; COMPUTE_PGM_RSRC2:SCRATCH_EN: 0
; COMPUTE_PGM_RSRC2:USER_SGPR: 2
; COMPUTE_PGM_RSRC2:TRAP_HANDLER: 0
; COMPUTE_PGM_RSRC2:TGID_X_EN: 1
; COMPUTE_PGM_RSRC2:TGID_Y_EN: 1
; COMPUTE_PGM_RSRC2:TGID_Z_EN: 0
; COMPUTE_PGM_RSRC2:TIDIG_COMP_CNT: 0
; COMPUTE_PGM_RSRC3_GFX90A:ACCUM_OFFSET: 7
; COMPUTE_PGM_RSRC3_GFX90A:TG_SPLIT: 0
	.section	.text._ZN9rocsolver6v33100L18lasyf_kernel_lowerIfPfEEviiPiT0_iilS3_lS3_PT_,"axG",@progbits,_ZN9rocsolver6v33100L18lasyf_kernel_lowerIfPfEEviiPiT0_iilS3_lS3_PT_,comdat
	.globl	_ZN9rocsolver6v33100L18lasyf_kernel_lowerIfPfEEviiPiT0_iilS3_lS3_PT_ ; -- Begin function _ZN9rocsolver6v33100L18lasyf_kernel_lowerIfPfEEviiPiT0_iilS3_lS3_PT_
	.p2align	8
	.type	_ZN9rocsolver6v33100L18lasyf_kernel_lowerIfPfEEviiPiT0_iilS3_lS3_PT_,@function
_ZN9rocsolver6v33100L18lasyf_kernel_lowerIfPfEEviiPiT0_iilS3_lS3_PT_: ; @_ZN9rocsolver6v33100L18lasyf_kernel_lowerIfPfEEviiPiT0_iilS3_lS3_PT_
; %bb.0:
	s_mov_b32 s40, s3
	v_cmp_eq_u32_e64 s[10:11], 0, v0
	s_and_saveexec_b64 s[2:3], s[10:11]
; %bb.1:
	v_mov_b32_e32 v1, 0
	ds_write_b32 v1, v1 offset:2052
; %bb.2:
	s_or_b64 exec, exec, s[2:3]
	s_load_dwordx2 s[26:27], s[0:1], 0x18
	s_load_dwordx2 s[28:29], s[0:1], 0x0
	s_load_dwordx4 s[20:23], s[0:1], 0x8
	s_load_dwordx8 s[12:19], s[0:1], 0x20
	s_load_dwordx2 s[34:35], s[0:1], 0x40
	s_ashr_i32 s41, s40, 31
	s_waitcnt lgkmcnt(0)
	s_ashr_i32 s1, s26, 31
	s_mov_b32 s0, s26
	s_mul_hi_u32 s2, s12, s40
	s_mul_i32 s3, s12, s41
	s_add_i32 s2, s2, s3
	s_mul_i32 s3, s13, s40
	s_add_i32 s3, s2, s3
	s_mul_i32 s2, s12, s40
	s_lshl_b64 s[36:37], s[2:3], 2
	s_add_u32 s2, s22, s36
	s_addc_u32 s3, s23, s37
	s_lshl_b64 s[38:39], s[0:1], 2
	s_mul_i32 s0, s28, s40
	s_add_u32 s24, s2, s38
	s_mul_i32 s0, s0, s29
	s_addc_u32 s25, s3, s39
	s_ashr_i32 s1, s0, 31
	s_lshl_b64 s[42:43], s[0:1], 2
	s_add_u32 s30, s34, s42
	s_mul_hi_u32 s0, s16, s40
	s_mul_i32 s1, s16, s41
	s_addc_u32 s31, s35, s43
	s_add_i32 s0, s0, s1
	s_mul_i32 s1, s17, s40
	s_add_i32 s1, s0, s1
	s_mul_i32 s0, s16, s40
	s_lshl_b64 s[0:1], s[0:1], 2
	s_add_u32 s14, s14, s0
	s_addc_u32 s15, s15, s1
	s_cmp_lt_i32 s28, 1
	v_lshlrev_b32_e32 v4, 2, v0
	v_mul_lo_u32 v1, v0, s27
	s_cbranch_scc1 .LBB2_242
; %bb.3:
	s_add_i32 s26, s29, -1
	s_cmp_eq_u32 s29, s28
	s_cselect_b64 s[16:17], -1, 0
	s_add_i32 s33, s28, -1
	s_add_i32 s68, s27, 1
	s_add_i32 s69, s28, -2
	s_add_i32 s70, s28, 1
	s_add_u32 s44, s34, s42
	s_movk_i32 s0, 0x80
	s_addc_u32 s45, s35, s43
	v_cmp_gt_u32_e64 s[2:3], s0, v0
	s_add_u32 s0, s36, s38
	s_addc_u32 s1, s37, s39
	s_add_u32 s46, s22, s0
	s_addc_u32 s47, s23, s1
	s_mov_b32 s1, 0
	s_mov_b32 s0, s28
	s_lshl_b64 s[48:49], s[0:1], 2
	v_mov_b32_e32 v9, 0
	s_ashr_i32 s1, s27, 31
	s_mov_b32 s0, s27
	v_mov_b32_e32 v5, v9
	s_lshl_b64 s[50:51], s[0:1], 2
	s_lshl_b32 s0, s28, 8
	v_add_u32_e32 v6, 2, v0
	v_lshl_add_u64 v[12:13], s[44:45], 0, v[4:5]
	v_mul_lo_u32 v16, v0, s28
	s_ashr_i32 s1, s0, 31
	v_or_b32_e32 v7, 0x400, v4
	v_cmp_gt_u32_e64 s[4:5], 64, v0
	v_lshl_add_u64 v[10:11], s[46:47], 0, v[4:5]
	v_lshl_add_u64 v[14:15], v[12:13], 0, 4
	s_lshl_b32 s71, s27, 8
	v_mul_lo_u32 v5, v0, s27
	v_ashrrev_i32_e32 v17, 31, v16
	s_lshl_b64 s[52:53], s[0:1], 2
	v_add_u32_e32 v36, s27, v6
	s_mov_b64 s[54:55], 0
	s_mov_b64 s[56:57], 0x400
	s_brev_b32 s72, -2
	v_mov_b32_e32 v2, v9
                                        ; implicit-def: $sgpr58_sgpr59
	s_branch .LBB2_6
.LBB2_4:                                ;   in Loop: Header=BB2_6 Depth=1
	s_or_b64 exec, exec, s[0:1]
	v_add_u32_e32 v2, v8, v2
	v_cmp_le_i32_e32 vcc, s28, v2
	s_andn2_b64 s[0:1], s[58:59], exec
	s_and_b64 s[6:7], vcc, exec
	s_or_b64 s[58:59], s[0:1], s[6:7]
.LBB2_5:                                ;   in Loop: Header=BB2_6 Depth=1
	s_or_b64 exec, exec, s[60:61]
	s_and_b64 s[0:1], exec, s[58:59]
	s_or_b64 s[54:55], s[0:1], s[54:55]
	s_andn2_b64 exec, exec, s[54:55]
	s_cbranch_execz .LBB2_210
.LBB2_6:                                ; =>This Loop Header: Depth=1
                                        ;     Child Loop BB2_11 Depth 2
                                        ;     Child Loop BB2_16 Depth 2
                                        ;       Child Loop BB2_18 Depth 3
                                        ;     Child Loop BB2_22 Depth 2
                                        ;     Child Loop BB2_64 Depth 2
	;; [unrolled: 1-line block ×4, first 2 shown]
                                        ;       Child Loop BB2_76 Depth 3
                                        ;     Child Loop BB2_81 Depth 2
                                        ;     Child Loop BB2_122 Depth 2
	;; [unrolled: 1-line block ×9, first 2 shown]
	v_cmp_gt_i32_e32 vcc, s26, v2
	s_or_b64 s[0:1], s[16:17], vcc
	s_or_b64 s[58:59], s[58:59], exec
	s_and_saveexec_b64 s[60:61], s[0:1]
	s_cbranch_execz .LBB2_5
; %bb.7:                                ;   in Loop: Header=BB2_6 Depth=1
	v_sub_u32_e32 v39, s28, v2
	v_cmp_lt_i32_e64 s[8:9], v0, v39
	v_cmp_ge_i32_e32 vcc, v0, v39
	v_mul_lo_u32 v20, v2, s28
	s_and_saveexec_b64 s[0:1], vcc
	s_xor_b64 s[0:1], exec, s[0:1]
; %bb.8:                                ;   in Loop: Header=BB2_6 Depth=1
	v_mul_lo_u32 v20, v2, s28
; %bb.9:                                ;   in Loop: Header=BB2_6 Depth=1
	s_andn2_saveexec_b64 s[0:1], s[0:1]
	s_cbranch_execz .LBB2_13
; %bb.10:                               ;   in Loop: Header=BB2_6 Depth=1
	v_mad_u64_u32 v[18:19], s[6:7], s70, v2, v[0:1]
	v_mad_u64_u32 v[22:23], s[6:7], s68, v2, v[0:1]
	v_mov_b32_e32 v19, v9
	v_ashrrev_i32_e32 v23, 31, v22
	v_lshl_add_u64 v[18:19], v[18:19], 2, s[44:45]
	v_lshl_add_u64 v[22:23], v[22:23], 2, s[46:47]
	s_mov_b64 s[6:7], 0
	v_mov_b32_e32 v3, v0
.LBB2_11:                               ;   Parent Loop BB2_6 Depth=1
                                        ; =>  This Inner Loop Header: Depth=2
	global_load_dword v8, v[22:23], off
	v_add_u32_e32 v3, 0x100, v3
	v_cmp_ge_i32_e32 vcc, v3, v39
	v_lshl_add_u64 v[22:23], v[22:23], 0, s[56:57]
	s_or_b64 s[6:7], vcc, s[6:7]
	s_waitcnt vmcnt(0)
	global_store_dword v[18:19], v8, off
	v_lshl_add_u64 v[18:19], v[18:19], 0, s[56:57]
	s_andn2_b64 exec, exec, s[6:7]
	s_cbranch_execnz .LBB2_11
; %bb.12:                               ;   in Loop: Header=BB2_6 Depth=1
	s_or_b64 exec, exec, s[6:7]
.LBB2_13:                               ;   in Loop: Header=BB2_6 Depth=1
	s_or_b64 exec, exec, s[0:1]
	v_mov_b32_e32 v3, v9
	v_lshl_add_u64 v[22:23], v[2:3], 2, s[30:31]
	v_ashrrev_i32_e32 v21, 31, v20
	v_lshl_add_u64 v[18:19], v[20:21], 2, v[22:23]
	s_barrier
	s_and_saveexec_b64 s[6:7], s[8:9]
	s_cbranch_execz .LBB2_20
; %bb.14:                               ;   in Loop: Header=BB2_6 Depth=1
	v_cmp_ne_u32_e32 vcc, 0, v2
	v_lshl_add_u64 v[24:25], v[2:3], 2, v[10:11]
	s_mov_b64 s[12:13], 0
	v_mov_b32_e32 v8, v0
	s_branch .LBB2_16
.LBB2_15:                               ;   in Loop: Header=BB2_16 Depth=2
	s_or_b64 exec, exec, s[62:63]
	v_lshl_add_u64 v[26:27], v[8:9], 2, v[18:19]
	global_load_dword v28, v[26:27], off
	v_add_u32_e32 v8, 0x100, v8
	v_cmp_ge_i32_e64 s[0:1], v8, v39
	s_or_b64 s[12:13], s[0:1], s[12:13]
	v_lshl_add_u64 v[24:25], v[24:25], 0, s[56:57]
	s_waitcnt vmcnt(0)
	v_sub_f32_e32 v28, v28, v30
	global_store_dword v[26:27], v28, off
	s_andn2_b64 exec, exec, s[12:13]
	s_cbranch_execz .LBB2_20
.LBB2_16:                               ;   Parent Loop BB2_6 Depth=1
                                        ; =>  This Loop Header: Depth=2
                                        ;       Child Loop BB2_18 Depth 3
	v_mov_b32_e32 v30, 0
	s_and_saveexec_b64 s[62:63], vcc
	s_cbranch_execz .LBB2_15
; %bb.17:                               ;   in Loop: Header=BB2_16 Depth=2
	v_mov_b32_e32 v30, 0
	s_mov_b64 s[64:65], 0
	v_mov_b64_e32 v[26:27], v[24:25]
	v_mov_b64_e32 v[28:29], v[22:23]
	v_mov_b32_e32 v31, v2
.LBB2_18:                               ;   Parent Loop BB2_6 Depth=1
                                        ;     Parent Loop BB2_16 Depth=2
                                        ; =>    This Inner Loop Header: Depth=3
	global_load_dword v32, v[26:27], off
	global_load_dword v33, v[28:29], off
	v_add_u32_e32 v31, -1, v31
	v_cmp_eq_u32_e64 s[0:1], 0, v31
	v_lshl_add_u64 v[28:29], v[28:29], 0, s[48:49]
	v_lshl_add_u64 v[26:27], v[26:27], 0, s[50:51]
	s_or_b64 s[64:65], s[0:1], s[64:65]
	s_waitcnt vmcnt(0)
	v_fmac_f32_e32 v30, v32, v33
	s_andn2_b64 exec, exec, s[64:65]
	s_cbranch_execnz .LBB2_18
; %bb.19:                               ;   in Loop: Header=BB2_16 Depth=2
	s_or_b64 exec, exec, s[64:65]
	s_branch .LBB2_15
.LBB2_20:                               ;   in Loop: Header=BB2_6 Depth=1
	s_or_b64 exec, exec, s[6:7]
	v_add_u32_e32 v37, -1, v39
	v_cmp_lt_i32_e64 s[6:7], v0, v37
	v_mov_b32_e32 v8, 0
	v_bfrev_b32_e32 v26, -2
	s_barrier
	s_and_saveexec_b64 s[12:13], s[6:7]
	s_cbranch_execz .LBB2_24
; %bb.21:                               ;   in Loop: Header=BB2_6 Depth=1
	v_lshlrev_b64 v[24:25], 2, v[2:3]
	v_lshl_add_u64 v[24:25], v[20:21], 2, v[24:25]
	v_lshl_add_u64 v[24:25], v[14:15], 0, v[24:25]
	v_mov_b32_e32 v8, 0
	v_bfrev_b32_e32 v26, -2
	s_mov_b64 s[62:63], 0
	v_mov_b32_e32 v27, v0
.LBB2_22:                               ;   Parent Loop BB2_6 Depth=1
                                        ; =>  This Inner Loop Header: Depth=2
	global_load_dword v28, v[24:25], off
	v_cmp_eq_u32_e32 vcc, s72, v26
	v_add_u32_e32 v29, 1, v27
	v_add_u32_e32 v27, 0x100, v27
	v_cmp_ge_i32_e64 s[0:1], v27, v37
	v_lshl_add_u64 v[24:25], v[24:25], 0, s[56:57]
	s_waitcnt vmcnt(0)
	v_cmp_lt_f32_e64 s[64:65], v8, |v28|
	s_or_b64 vcc, s[64:65], vcc
	v_cndmask_b32_e64 v8, v8, |v28|, vcc
	s_or_b64 s[62:63], s[0:1], s[62:63]
	v_cndmask_b32_e32 v26, v26, v29, vcc
	s_andn2_b64 exec, exec, s[62:63]
	s_cbranch_execnz .LBB2_22
; %bb.23:                               ;   in Loop: Header=BB2_6 Depth=1
	s_or_b64 exec, exec, s[62:63]
.LBB2_24:                               ;   in Loop: Header=BB2_6 Depth=1
	s_or_b64 exec, exec, s[12:13]
	v_cmp_lt_i32_e32 vcc, 2, v39
	ds_write_b32 v7, v8
	ds_write_b32 v4, v26
	s_waitcnt lgkmcnt(0)
	s_barrier
	s_and_saveexec_b64 s[62:63], vcc
	s_cbranch_execz .LBB2_58
; %bb.25:                               ;   in Loop: Header=BB2_6 Depth=1
	s_and_saveexec_b64 s[12:13], s[2:3]
	s_cbranch_execz .LBB2_31
; %bb.26:                               ;   in Loop: Header=BB2_6 Depth=1
	ds_read_b32 v24, v7 offset:512
	ds_read_b32 v25, v4 offset:512
	s_waitcnt lgkmcnt(1)
	v_cmp_lt_f32_e64 s[64:65], v8, v24
	v_cmp_nlt_f32_e32 vcc, v8, v24
	s_and_saveexec_b64 s[66:67], vcc
	s_cbranch_execz .LBB2_28
; %bb.27:                               ;   in Loop: Header=BB2_6 Depth=1
	v_cmp_eq_f32_e32 vcc, v8, v24
	s_waitcnt lgkmcnt(0)
	v_cmp_gt_i32_e64 s[0:1], v26, v25
	s_and_b64 s[0:1], vcc, s[0:1]
	s_andn2_b64 s[64:65], s[64:65], exec
	s_and_b64 s[0:1], s[0:1], exec
	s_or_b64 s[64:65], s[64:65], s[0:1]
.LBB2_28:                               ;   in Loop: Header=BB2_6 Depth=1
	s_or_b64 exec, exec, s[66:67]
	s_and_saveexec_b64 s[0:1], s[64:65]
	s_cbranch_execz .LBB2_30
; %bb.29:                               ;   in Loop: Header=BB2_6 Depth=1
	s_waitcnt lgkmcnt(0)
	v_mov_b32_e32 v26, v25
	v_mov_b32_e32 v8, v24
	ds_write_b32 v7, v24
	ds_write_b32 v4, v25
.LBB2_30:                               ;   in Loop: Header=BB2_6 Depth=1
	s_or_b64 exec, exec, s[0:1]
.LBB2_31:                               ;   in Loop: Header=BB2_6 Depth=1
	s_or_b64 exec, exec, s[12:13]
	s_waitcnt lgkmcnt(0)
	s_barrier
	s_and_b64 exec, exec, s[4:5]
	s_cbranch_execz .LBB2_58
; %bb.32:                               ;   in Loop: Header=BB2_6 Depth=1
	ds_read_b32 v24, v7 offset:256
	ds_read_b32 v25, v4 offset:256
	s_waitcnt lgkmcnt(1)
	v_cmp_lt_f32_e64 s[12:13], v8, v24
	v_cmp_nlt_f32_e32 vcc, v8, v24
	s_and_saveexec_b64 s[64:65], vcc
	s_cbranch_execz .LBB2_34
; %bb.33:                               ;   in Loop: Header=BB2_6 Depth=1
	v_cmp_eq_f32_e32 vcc, v8, v24
	s_waitcnt lgkmcnt(0)
	v_cmp_gt_i32_e64 s[0:1], v26, v25
	s_and_b64 s[0:1], vcc, s[0:1]
	s_andn2_b64 s[12:13], s[12:13], exec
	s_and_b64 s[0:1], s[0:1], exec
	s_or_b64 s[12:13], s[12:13], s[0:1]
.LBB2_34:                               ;   in Loop: Header=BB2_6 Depth=1
	s_or_b64 exec, exec, s[64:65]
	s_and_saveexec_b64 s[0:1], s[12:13]
	s_cbranch_execz .LBB2_36
; %bb.35:                               ;   in Loop: Header=BB2_6 Depth=1
	v_mov_b32_e32 v8, v24
	s_waitcnt lgkmcnt(0)
	v_mov_b32_e32 v26, v25
	ds_write_b32 v7, v24
	ds_write_b32 v4, v25
.LBB2_36:                               ;   in Loop: Header=BB2_6 Depth=1
	s_or_b64 exec, exec, s[0:1]
	ds_read_b32 v24, v7 offset:128
	s_waitcnt lgkmcnt(1)
	ds_read_b32 v25, v4 offset:128
	s_waitcnt lgkmcnt(1)
	v_cmp_lt_f32_e64 s[12:13], v8, v24
	v_cmp_nlt_f32_e32 vcc, v8, v24
	s_and_saveexec_b64 s[64:65], vcc
	s_cbranch_execz .LBB2_38
; %bb.37:                               ;   in Loop: Header=BB2_6 Depth=1
	v_cmp_eq_f32_e32 vcc, v8, v24
	s_waitcnt lgkmcnt(0)
	v_cmp_gt_i32_e64 s[0:1], v26, v25
	s_and_b64 s[0:1], vcc, s[0:1]
	s_andn2_b64 s[12:13], s[12:13], exec
	s_and_b64 s[0:1], s[0:1], exec
	s_or_b64 s[12:13], s[12:13], s[0:1]
.LBB2_38:                               ;   in Loop: Header=BB2_6 Depth=1
	s_or_b64 exec, exec, s[64:65]
	s_and_saveexec_b64 s[0:1], s[12:13]
	s_cbranch_execz .LBB2_40
; %bb.39:                               ;   in Loop: Header=BB2_6 Depth=1
	v_mov_b32_e32 v8, v24
	s_waitcnt lgkmcnt(0)
	v_mov_b32_e32 v26, v25
	ds_write_b32 v7, v24
	ds_write_b32 v4, v25
.LBB2_40:                               ;   in Loop: Header=BB2_6 Depth=1
	s_or_b64 exec, exec, s[0:1]
	ds_read_b32 v24, v7 offset:64
	s_waitcnt lgkmcnt(1)
	;; [unrolled: 28-line block ×6, first 2 shown]
	ds_read_b32 v25, v4 offset:4
	s_waitcnt lgkmcnt(1)
	v_cmp_eq_f32_e64 s[0:1], v8, v24
	s_waitcnt lgkmcnt(0)
	v_cmp_gt_i32_e64 s[12:13], v26, v25
	v_cmp_lt_f32_e32 vcc, v8, v24
	s_and_b64 s[0:1], s[0:1], s[12:13]
	s_or_b64 s[0:1], vcc, s[0:1]
	s_and_b64 exec, exec, s[0:1]
	s_cbranch_execz .LBB2_58
; %bb.57:                               ;   in Loop: Header=BB2_6 Depth=1
	ds_write_b32 v7, v24
	ds_write_b32 v4, v25
.LBB2_58:                               ;   in Loop: Header=BB2_6 Depth=1
	s_or_b64 exec, exec, s[62:63]
	s_and_saveexec_b64 s[0:1], s[10:11]
	s_cbranch_execz .LBB2_60
; %bb.59:                               ;   in Loop: Header=BB2_6 Depth=1
	global_load_dword v8, v[18:19], off
	ds_read2st64_b32 v[24:25], v9 offset1:4
	s_waitcnt lgkmcnt(0)
	v_add_u32_e32 v24, v24, v2
	ds_write_b32 v9, v24 offset:2048
	s_waitcnt vmcnt(0)
	v_and_b32_e32 v24, 0x7fffffff, v8
	ds_write_b64 v9, v[24:25] offset:2056
.LBB2_60:                               ;   in Loop: Header=BB2_6 Depth=1
	s_or_b64 exec, exec, s[0:1]
	s_waitcnt lgkmcnt(0)
	s_barrier
	ds_read_b64 v[24:25], v9 offset:2056
	v_add_u32_e32 v38, 1, v2
	s_waitcnt lgkmcnt(0)
	v_cmp_lt_f32_e32 vcc, v24, v25
	s_nop 1
	v_cndmask_b32_e32 v8, v24, v25, vcc
	v_cmp_neq_f32_e32 vcc, 0, v8
	s_cbranch_vccz .LBB2_78
; %bb.61:                               ;   in Loop: Header=BB2_6 Depth=1
	v_mul_f32_e32 v8, 0x3f23f07b, v25
	v_cmp_ge_f32_e32 vcc, v24, v8
	s_cbranch_vccnz .LBB2_169
; %bb.62:                               ;   in Loop: Header=BB2_6 Depth=1
	ds_read_b32 v8, v9 offset:2048
	s_waitcnt lgkmcnt(0)
	v_sub_u32_e32 v28, v8, v2
	v_cmp_lt_i32_e32 vcc, v0, v28
	s_and_saveexec_b64 s[0:1], vcc
	s_cbranch_execz .LBB2_65
; %bb.63:                               ;   in Loop: Header=BB2_6 Depth=1
	v_add_u32_e32 v26, v0, v2
	v_mad_u64_u32 v[24:25], s[12:13], v38, s28, v[26:27]
	v_mov_b32_e32 v25, v9
	v_mul_lo_u32 v26, s27, v26
	v_lshl_add_u64 v[24:25], v[24:25], 2, s[44:45]
	v_add_u32_e32 v26, v8, v26
	s_mov_b64 s[12:13], 0
	v_mov_b32_e32 v29, v0
.LBB2_64:                               ;   Parent Loop BB2_6 Depth=1
                                        ; =>  This Inner Loop Header: Depth=2
	v_ashrrev_i32_e32 v27, 31, v26
	v_lshl_add_u64 v[30:31], v[26:27], 2, s[24:25]
	global_load_dword v27, v[30:31], off
	v_add_u32_e32 v29, 0x100, v29
	v_cmp_ge_i32_e32 vcc, v29, v28
	v_add_u32_e32 v26, s71, v26
	s_or_b64 s[12:13], vcc, s[12:13]
	s_waitcnt vmcnt(0)
	global_store_dword v[24:25], v27, off
	v_lshl_add_u64 v[24:25], v[24:25], 0, s[56:57]
	s_andn2_b64 exec, exec, s[12:13]
	s_cbranch_execnz .LBB2_64
.LBB2_65:                               ;   in Loop: Header=BB2_6 Depth=1
	s_or_b64 exec, exec, s[0:1]
	v_sub_u32_e32 v25, s28, v8
	v_cmp_ge_i32_e32 vcc, v0, v25
                                        ; implicit-def: $vgpr24
	s_and_saveexec_b64 s[0:1], vcc
	s_xor_b64 s[0:1], exec, s[0:1]
; %bb.66:                               ;   in Loop: Header=BB2_6 Depth=1
	v_mul_lo_u32 v24, v38, s28
                                        ; implicit-def: $vgpr25
                                        ; implicit-def: $vgpr8
; %bb.67:                               ;   in Loop: Header=BB2_6 Depth=1
	s_andn2_saveexec_b64 s[0:1], s[0:1]
	s_cbranch_execz .LBB2_71
; %bb.68:                               ;   in Loop: Header=BB2_6 Depth=1
	v_mul_lo_u32 v24, v38, s28
	v_add3_u32 v26, v0, v8, v24
	v_mul_lo_u32 v8, s68, v8
	v_add_u32_e32 v28, v0, v8
	v_ashrrev_i32_e32 v27, 31, v26
	v_ashrrev_i32_e32 v29, 31, v28
	v_lshl_add_u64 v[26:27], v[26:27], 2, s[44:45]
	v_lshl_add_u64 v[28:29], v[28:29], 2, s[46:47]
	s_mov_b64 s[12:13], 0
	v_mov_b32_e32 v8, v0
.LBB2_69:                               ;   Parent Loop BB2_6 Depth=1
                                        ; =>  This Inner Loop Header: Depth=2
	global_load_dword v30, v[28:29], off
	v_add_u32_e32 v8, 0x100, v8
	v_cmp_ge_i32_e32 vcc, v8, v25
	v_lshl_add_u64 v[28:29], v[28:29], 0, s[56:57]
	s_or_b64 s[12:13], vcc, s[12:13]
	s_waitcnt vmcnt(0)
	global_store_dword v[26:27], v30, off
	v_lshl_add_u64 v[26:27], v[26:27], 0, s[56:57]
	s_andn2_b64 exec, exec, s[12:13]
	s_cbranch_execnz .LBB2_69
; %bb.70:                               ;   in Loop: Header=BB2_6 Depth=1
	s_or_b64 exec, exec, s[12:13]
.LBB2_71:                               ;   in Loop: Header=BB2_6 Depth=1
	s_or_b64 exec, exec, s[0:1]
	v_ashrrev_i32_e32 v25, 31, v24
	s_barrier
	s_and_saveexec_b64 s[12:13], s[8:9]
	s_cbranch_execz .LBB2_79
; %bb.72:                               ;   in Loop: Header=BB2_6 Depth=1
	ds_read_b32 v30, v9 offset:2048
	v_lshl_add_u64 v[26:27], v[24:25], 2, v[22:23]
	v_cmp_ne_u32_e32 vcc, 0, v2
	v_lshl_add_u64 v[28:29], v[2:3], 2, v[10:11]
	s_mov_b64 s[62:63], 0
	s_waitcnt lgkmcnt(0)
	v_ashrrev_i32_e32 v31, 31, v30
	v_lshlrev_b64 v[30:31], 2, v[30:31]
	v_lshl_add_u64 v[30:31], s[30:31], 0, v[30:31]
	v_mov_b32_e32 v8, v0
	s_branch .LBB2_74
.LBB2_73:                               ;   in Loop: Header=BB2_74 Depth=2
	s_or_b64 exec, exec, s[64:65]
	v_lshl_add_u64 v[32:33], v[8:9], 2, v[26:27]
	global_load_dword v34, v[32:33], off
	v_add_u32_e32 v8, 0x100, v8
	v_cmp_ge_i32_e64 s[0:1], v8, v39
	s_or_b64 s[62:63], s[0:1], s[62:63]
	v_lshl_add_u64 v[28:29], v[28:29], 0, s[56:57]
	s_waitcnt vmcnt(0)
	v_sub_f32_e32 v34, v34, v40
	global_store_dword v[32:33], v34, off
	s_andn2_b64 exec, exec, s[62:63]
	s_cbranch_execz .LBB2_79
.LBB2_74:                               ;   Parent Loop BB2_6 Depth=1
                                        ; =>  This Loop Header: Depth=2
                                        ;       Child Loop BB2_76 Depth 3
	v_mov_b32_e32 v40, 0
	s_and_saveexec_b64 s[64:65], vcc
	s_cbranch_execz .LBB2_73
; %bb.75:                               ;   in Loop: Header=BB2_74 Depth=2
	v_mov_b32_e32 v40, 0
	s_mov_b64 s[66:67], 0
	v_mov_b64_e32 v[32:33], v[28:29]
	v_mov_b64_e32 v[34:35], v[30:31]
	v_mov_b32_e32 v41, v2
.LBB2_76:                               ;   Parent Loop BB2_6 Depth=1
                                        ;     Parent Loop BB2_74 Depth=2
                                        ; =>    This Inner Loop Header: Depth=3
	global_load_dword v42, v[32:33], off
	global_load_dword v43, v[34:35], off
	v_add_u32_e32 v41, -1, v41
	v_cmp_eq_u32_e64 s[0:1], 0, v41
	v_lshl_add_u64 v[34:35], v[34:35], 0, s[48:49]
	v_lshl_add_u64 v[32:33], v[32:33], 0, s[50:51]
	s_or_b64 s[66:67], s[0:1], s[66:67]
	s_waitcnt vmcnt(0)
	v_fmac_f32_e32 v40, v42, v43
	s_andn2_b64 exec, exec, s[66:67]
	s_cbranch_execnz .LBB2_76
; %bb.77:                               ;   in Loop: Header=BB2_74 Depth=2
	s_or_b64 exec, exec, s[66:67]
	s_branch .LBB2_73
.LBB2_78:                               ;   in Loop: Header=BB2_6 Depth=1
                                        ; implicit-def: $sgpr12_sgpr13
                                        ; implicit-def: $vgpr26
                                        ; implicit-def: $vgpr8
	s_cbranch_execnz .LBB2_202
	s_branch .LBB2_205
.LBB2_79:                               ;   in Loop: Header=BB2_6 Depth=1
	s_or_b64 exec, exec, s[12:13]
	s_barrier
	ds_read_b32 v26, v9 offset:2048
	v_mov_b32_e32 v8, 0
	v_bfrev_b32_e32 v28, -2
	s_waitcnt lgkmcnt(0)
	v_sub_u32_e32 v29, v26, v2
	v_cmp_lt_i32_e32 vcc, v0, v29
	s_and_saveexec_b64 s[12:13], vcc
	s_cbranch_execz .LBB2_83
; %bb.80:                               ;   in Loop: Header=BB2_6 Depth=1
	v_lshlrev_b64 v[26:27], 2, v[2:3]
	v_lshl_add_u64 v[26:27], v[24:25], 2, v[26:27]
	v_lshl_add_u64 v[26:27], v[12:13], 0, v[26:27]
	v_mov_b32_e32 v8, 0
	v_bfrev_b32_e32 v28, -2
	s_mov_b64 s[62:63], 0
	v_mov_b32_e32 v30, v0
.LBB2_81:                               ;   Parent Loop BB2_6 Depth=1
                                        ; =>  This Inner Loop Header: Depth=2
	global_load_dword v31, v[26:27], off
	v_cmp_eq_u32_e32 vcc, s72, v28
	v_add_u32_e32 v32, 1, v30
	v_add_u32_e32 v30, 0x100, v30
	v_cmp_ge_i32_e64 s[0:1], v30, v29
	v_lshl_add_u64 v[26:27], v[26:27], 0, s[56:57]
	s_waitcnt vmcnt(0)
	v_cmp_lt_f32_e64 s[64:65], v8, |v31|
	s_or_b64 vcc, s[64:65], vcc
	v_cndmask_b32_e64 v8, v8, |v31|, vcc
	s_or_b64 s[62:63], s[0:1], s[62:63]
	v_cndmask_b32_e32 v28, v28, v32, vcc
	s_andn2_b64 exec, exec, s[62:63]
	s_cbranch_execnz .LBB2_81
; %bb.82:                               ;   in Loop: Header=BB2_6 Depth=1
	s_or_b64 exec, exec, s[62:63]
.LBB2_83:                               ;   in Loop: Header=BB2_6 Depth=1
	s_or_b64 exec, exec, s[12:13]
	v_cmp_lt_i32_e32 vcc, 1, v29
	ds_write_b32 v7, v8
	ds_write_b32 v4, v28
	s_waitcnt lgkmcnt(0)
	s_barrier
	s_and_saveexec_b64 s[62:63], vcc
	s_cbranch_execz .LBB2_117
; %bb.84:                               ;   in Loop: Header=BB2_6 Depth=1
	s_and_saveexec_b64 s[12:13], s[2:3]
	s_cbranch_execz .LBB2_90
; %bb.85:                               ;   in Loop: Header=BB2_6 Depth=1
	ds_read_b32 v26, v7 offset:512
	ds_read_b32 v27, v4 offset:512
	s_waitcnt lgkmcnt(1)
	v_cmp_lt_f32_e64 s[64:65], v8, v26
	v_cmp_nlt_f32_e32 vcc, v8, v26
	s_and_saveexec_b64 s[66:67], vcc
	s_cbranch_execz .LBB2_87
; %bb.86:                               ;   in Loop: Header=BB2_6 Depth=1
	v_cmp_eq_f32_e32 vcc, v8, v26
	s_waitcnt lgkmcnt(0)
	v_cmp_gt_i32_e64 s[0:1], v28, v27
	s_and_b64 s[0:1], vcc, s[0:1]
	s_andn2_b64 s[64:65], s[64:65], exec
	s_and_b64 s[0:1], s[0:1], exec
	s_or_b64 s[64:65], s[64:65], s[0:1]
.LBB2_87:                               ;   in Loop: Header=BB2_6 Depth=1
	s_or_b64 exec, exec, s[66:67]
	s_and_saveexec_b64 s[0:1], s[64:65]
	s_cbranch_execz .LBB2_89
; %bb.88:                               ;   in Loop: Header=BB2_6 Depth=1
	s_waitcnt lgkmcnt(0)
	v_mov_b32_e32 v28, v27
	v_mov_b32_e32 v8, v26
	ds_write_b32 v7, v26
	ds_write_b32 v4, v27
.LBB2_89:                               ;   in Loop: Header=BB2_6 Depth=1
	s_or_b64 exec, exec, s[0:1]
.LBB2_90:                               ;   in Loop: Header=BB2_6 Depth=1
	s_or_b64 exec, exec, s[12:13]
	s_waitcnt lgkmcnt(0)
	s_barrier
	s_and_b64 exec, exec, s[4:5]
	s_cbranch_execz .LBB2_117
; %bb.91:                               ;   in Loop: Header=BB2_6 Depth=1
	ds_read_b32 v26, v7 offset:256
	ds_read_b32 v27, v4 offset:256
	s_waitcnt lgkmcnt(1)
	v_cmp_lt_f32_e64 s[12:13], v8, v26
	v_cmp_nlt_f32_e32 vcc, v8, v26
	s_and_saveexec_b64 s[64:65], vcc
	s_cbranch_execz .LBB2_93
; %bb.92:                               ;   in Loop: Header=BB2_6 Depth=1
	v_cmp_eq_f32_e32 vcc, v8, v26
	s_waitcnt lgkmcnt(0)
	v_cmp_gt_i32_e64 s[0:1], v28, v27
	s_and_b64 s[0:1], vcc, s[0:1]
	s_andn2_b64 s[12:13], s[12:13], exec
	s_and_b64 s[0:1], s[0:1], exec
	s_or_b64 s[12:13], s[12:13], s[0:1]
.LBB2_93:                               ;   in Loop: Header=BB2_6 Depth=1
	s_or_b64 exec, exec, s[64:65]
	s_and_saveexec_b64 s[0:1], s[12:13]
	s_cbranch_execz .LBB2_95
; %bb.94:                               ;   in Loop: Header=BB2_6 Depth=1
	v_mov_b32_e32 v8, v26
	s_waitcnt lgkmcnt(0)
	v_mov_b32_e32 v28, v27
	ds_write_b32 v7, v26
	ds_write_b32 v4, v27
.LBB2_95:                               ;   in Loop: Header=BB2_6 Depth=1
	s_or_b64 exec, exec, s[0:1]
	ds_read_b32 v26, v7 offset:128
	s_waitcnt lgkmcnt(1)
	ds_read_b32 v27, v4 offset:128
	s_waitcnt lgkmcnt(1)
	v_cmp_lt_f32_e64 s[12:13], v8, v26
	v_cmp_nlt_f32_e32 vcc, v8, v26
	s_and_saveexec_b64 s[64:65], vcc
	s_cbranch_execz .LBB2_97
; %bb.96:                               ;   in Loop: Header=BB2_6 Depth=1
	v_cmp_eq_f32_e32 vcc, v8, v26
	s_waitcnt lgkmcnt(0)
	v_cmp_gt_i32_e64 s[0:1], v28, v27
	s_and_b64 s[0:1], vcc, s[0:1]
	s_andn2_b64 s[12:13], s[12:13], exec
	s_and_b64 s[0:1], s[0:1], exec
	s_or_b64 s[12:13], s[12:13], s[0:1]
.LBB2_97:                               ;   in Loop: Header=BB2_6 Depth=1
	s_or_b64 exec, exec, s[64:65]
	s_and_saveexec_b64 s[0:1], s[12:13]
	s_cbranch_execz .LBB2_99
; %bb.98:                               ;   in Loop: Header=BB2_6 Depth=1
	v_mov_b32_e32 v8, v26
	s_waitcnt lgkmcnt(0)
	v_mov_b32_e32 v28, v27
	ds_write_b32 v7, v26
	ds_write_b32 v4, v27
.LBB2_99:                               ;   in Loop: Header=BB2_6 Depth=1
	s_or_b64 exec, exec, s[0:1]
	ds_read_b32 v26, v7 offset:64
	s_waitcnt lgkmcnt(1)
	ds_read_b32 v27, v4 offset:64
	s_waitcnt lgkmcnt(1)
	v_cmp_lt_f32_e64 s[12:13], v8, v26
	v_cmp_nlt_f32_e32 vcc, v8, v26
	s_and_saveexec_b64 s[64:65], vcc
	s_cbranch_execz .LBB2_101
; %bb.100:                              ;   in Loop: Header=BB2_6 Depth=1
	v_cmp_eq_f32_e32 vcc, v8, v26
	s_waitcnt lgkmcnt(0)
	v_cmp_gt_i32_e64 s[0:1], v28, v27
	s_and_b64 s[0:1], vcc, s[0:1]
	s_andn2_b64 s[12:13], s[12:13], exec
	s_and_b64 s[0:1], s[0:1], exec
	s_or_b64 s[12:13], s[12:13], s[0:1]
.LBB2_101:                              ;   in Loop: Header=BB2_6 Depth=1
	s_or_b64 exec, exec, s[64:65]
	s_and_saveexec_b64 s[0:1], s[12:13]
	s_cbranch_execz .LBB2_103
; %bb.102:                              ;   in Loop: Header=BB2_6 Depth=1
	v_mov_b32_e32 v8, v26
	s_waitcnt lgkmcnt(0)
	v_mov_b32_e32 v28, v27
	ds_write_b32 v7, v26
	ds_write_b32 v4, v27
.LBB2_103:                              ;   in Loop: Header=BB2_6 Depth=1
	s_or_b64 exec, exec, s[0:1]
	ds_read_b32 v26, v7 offset:32
	s_waitcnt lgkmcnt(1)
	ds_read_b32 v27, v4 offset:32
	s_waitcnt lgkmcnt(1)
	v_cmp_lt_f32_e64 s[12:13], v8, v26
	v_cmp_nlt_f32_e32 vcc, v8, v26
	s_and_saveexec_b64 s[64:65], vcc
	s_cbranch_execz .LBB2_105
; %bb.104:                              ;   in Loop: Header=BB2_6 Depth=1
	v_cmp_eq_f32_e32 vcc, v8, v26
	s_waitcnt lgkmcnt(0)
	v_cmp_gt_i32_e64 s[0:1], v28, v27
	s_and_b64 s[0:1], vcc, s[0:1]
	s_andn2_b64 s[12:13], s[12:13], exec
	s_and_b64 s[0:1], s[0:1], exec
	s_or_b64 s[12:13], s[12:13], s[0:1]
.LBB2_105:                              ;   in Loop: Header=BB2_6 Depth=1
	s_or_b64 exec, exec, s[64:65]
	s_and_saveexec_b64 s[0:1], s[12:13]
	s_cbranch_execz .LBB2_107
; %bb.106:                              ;   in Loop: Header=BB2_6 Depth=1
	v_mov_b32_e32 v8, v26
	s_waitcnt lgkmcnt(0)
	v_mov_b32_e32 v28, v27
	ds_write_b32 v7, v26
	ds_write_b32 v4, v27
.LBB2_107:                              ;   in Loop: Header=BB2_6 Depth=1
	;; [unrolled: 28-line block ×4, first 2 shown]
	s_or_b64 exec, exec, s[0:1]
	ds_read_b32 v26, v7 offset:4
	s_waitcnt lgkmcnt(1)
	ds_read_b32 v27, v4 offset:4
	s_waitcnt lgkmcnt(1)
	v_cmp_eq_f32_e64 s[0:1], v8, v26
	s_waitcnt lgkmcnt(0)
	v_cmp_gt_i32_e64 s[12:13], v28, v27
	v_cmp_lt_f32_e32 vcc, v8, v26
	s_and_b64 s[0:1], s[0:1], s[12:13]
	s_or_b64 s[0:1], vcc, s[0:1]
	s_and_b64 exec, exec, s[0:1]
	s_cbranch_execz .LBB2_117
; %bb.116:                              ;   in Loop: Header=BB2_6 Depth=1
	ds_write_b32 v7, v26
	ds_write_b32 v4, v27
.LBB2_117:                              ;   in Loop: Header=BB2_6 Depth=1
	s_or_b64 exec, exec, s[62:63]
	s_and_saveexec_b64 s[0:1], s[10:11]
	s_cbranch_execz .LBB2_119
; %bb.118:                              ;   in Loop: Header=BB2_6 Depth=1
	ds_read_b32 v8, v9 offset:1024
	s_waitcnt lgkmcnt(0)
	ds_write_b32 v9, v8 offset:2064
.LBB2_119:                              ;   in Loop: Header=BB2_6 Depth=1
	s_or_b64 exec, exec, s[0:1]
	ds_read_b32 v8, v9 offset:2048
	s_waitcnt lgkmcnt(0)
	v_cmp_le_i32_e32 vcc, s33, v8
	v_readfirstlane_b32 s0, v8
	s_cbranch_vccnz .LBB2_162
; %bb.120:                              ;   in Loop: Header=BB2_6 Depth=1
	s_not_b32 s1, s0
	s_add_i32 s64, s28, s1
	v_cmp_gt_i32_e32 vcc, s64, v0
	v_mov_b32_e32 v8, 0
	v_bfrev_b32_e32 v28, -2
	s_and_saveexec_b64 s[12:13], vcc
	s_cbranch_execz .LBB2_124
; %bb.121:                              ;   in Loop: Header=BB2_6 Depth=1
	s_ashr_i32 s1, s0, 31
	v_lshlrev_b64 v[26:27], 2, v[24:25]
	v_lshl_add_u64 v[26:27], s[0:1], 2, v[26:27]
	v_lshl_add_u64 v[26:27], v[14:15], 0, v[26:27]
	v_mov_b32_e32 v8, 0
	v_bfrev_b32_e32 v28, -2
	s_mov_b64 s[62:63], 0
	v_mov_b32_e32 v25, v0
.LBB2_122:                              ;   Parent Loop BB2_6 Depth=1
                                        ; =>  This Inner Loop Header: Depth=2
	global_load_dword v29, v[26:27], off
	v_cmp_eq_u32_e32 vcc, s72, v28
	v_add_u32_e32 v30, 1, v25
	v_add_u32_e32 v25, 0x100, v25
	v_cmp_le_i32_e64 s[0:1], s64, v25
	v_lshl_add_u64 v[26:27], v[26:27], 0, s[56:57]
	s_waitcnt vmcnt(0)
	v_cmp_lt_f32_e64 s[66:67], v8, |v29|
	s_or_b64 vcc, s[66:67], vcc
	v_cndmask_b32_e64 v8, v8, |v29|, vcc
	s_or_b64 s[62:63], s[0:1], s[62:63]
	v_cndmask_b32_e32 v28, v28, v30, vcc
	s_andn2_b64 exec, exec, s[62:63]
	s_cbranch_execnz .LBB2_122
; %bb.123:                              ;   in Loop: Header=BB2_6 Depth=1
	s_or_b64 exec, exec, s[62:63]
.LBB2_124:                              ;   in Loop: Header=BB2_6 Depth=1
	s_or_b64 exec, exec, s[12:13]
	s_cmp_lt_i32 s64, 2
	ds_write_b32 v7, v8
	ds_write_b32 v4, v28
	s_waitcnt lgkmcnt(0)
	s_barrier
	s_cbranch_scc1 .LBB2_159
; %bb.125:                              ;   in Loop: Header=BB2_6 Depth=1
	s_and_saveexec_b64 s[12:13], s[2:3]
	s_cbranch_execz .LBB2_131
; %bb.126:                              ;   in Loop: Header=BB2_6 Depth=1
	ds_read_b32 v25, v7 offset:512
	ds_read_b32 v26, v4 offset:512
	s_waitcnt lgkmcnt(1)
	v_cmp_lt_f32_e64 s[62:63], v8, v25
	v_cmp_nlt_f32_e32 vcc, v8, v25
	s_and_saveexec_b64 s[64:65], vcc
	s_cbranch_execz .LBB2_128
; %bb.127:                              ;   in Loop: Header=BB2_6 Depth=1
	v_cmp_eq_f32_e32 vcc, v8, v25
	s_waitcnt lgkmcnt(0)
	v_cmp_gt_i32_e64 s[0:1], v28, v26
	s_and_b64 s[0:1], vcc, s[0:1]
	s_andn2_b64 s[62:63], s[62:63], exec
	s_and_b64 s[0:1], s[0:1], exec
	s_or_b64 s[62:63], s[62:63], s[0:1]
.LBB2_128:                              ;   in Loop: Header=BB2_6 Depth=1
	s_or_b64 exec, exec, s[64:65]
	s_and_saveexec_b64 s[0:1], s[62:63]
	s_cbranch_execz .LBB2_130
; %bb.129:                              ;   in Loop: Header=BB2_6 Depth=1
	s_waitcnt lgkmcnt(0)
	v_mov_b32_e32 v28, v26
	v_mov_b32_e32 v8, v25
	ds_write_b32 v7, v25
	ds_write_b32 v4, v26
.LBB2_130:                              ;   in Loop: Header=BB2_6 Depth=1
	s_or_b64 exec, exec, s[0:1]
.LBB2_131:                              ;   in Loop: Header=BB2_6 Depth=1
	s_or_b64 exec, exec, s[12:13]
	s_waitcnt lgkmcnt(0)
	s_barrier
	s_and_saveexec_b64 s[62:63], s[4:5]
	s_cbranch_execz .LBB2_158
; %bb.132:                              ;   in Loop: Header=BB2_6 Depth=1
	ds_read_b32 v25, v7 offset:256
	ds_read_b32 v26, v4 offset:256
	s_waitcnt lgkmcnt(1)
	v_cmp_lt_f32_e64 s[12:13], v8, v25
	v_cmp_nlt_f32_e32 vcc, v8, v25
	s_and_saveexec_b64 s[64:65], vcc
	s_cbranch_execz .LBB2_134
; %bb.133:                              ;   in Loop: Header=BB2_6 Depth=1
	v_cmp_eq_f32_e32 vcc, v8, v25
	s_waitcnt lgkmcnt(0)
	v_cmp_gt_i32_e64 s[0:1], v28, v26
	s_and_b64 s[0:1], vcc, s[0:1]
	s_andn2_b64 s[12:13], s[12:13], exec
	s_and_b64 s[0:1], s[0:1], exec
	s_or_b64 s[12:13], s[12:13], s[0:1]
.LBB2_134:                              ;   in Loop: Header=BB2_6 Depth=1
	s_or_b64 exec, exec, s[64:65]
	s_and_saveexec_b64 s[0:1], s[12:13]
	s_cbranch_execz .LBB2_136
; %bb.135:                              ;   in Loop: Header=BB2_6 Depth=1
	v_mov_b32_e32 v8, v25
	s_waitcnt lgkmcnt(0)
	v_mov_b32_e32 v28, v26
	ds_write_b32 v7, v25
	ds_write_b32 v4, v26
.LBB2_136:                              ;   in Loop: Header=BB2_6 Depth=1
	s_or_b64 exec, exec, s[0:1]
	ds_read_b32 v25, v7 offset:128
	s_waitcnt lgkmcnt(1)
	ds_read_b32 v26, v4 offset:128
	s_waitcnt lgkmcnt(1)
	v_cmp_lt_f32_e64 s[12:13], v8, v25
	v_cmp_nlt_f32_e32 vcc, v8, v25
	s_and_saveexec_b64 s[64:65], vcc
	s_cbranch_execz .LBB2_138
; %bb.137:                              ;   in Loop: Header=BB2_6 Depth=1
	v_cmp_eq_f32_e32 vcc, v8, v25
	s_waitcnt lgkmcnt(0)
	v_cmp_gt_i32_e64 s[0:1], v28, v26
	s_and_b64 s[0:1], vcc, s[0:1]
	s_andn2_b64 s[12:13], s[12:13], exec
	s_and_b64 s[0:1], s[0:1], exec
	s_or_b64 s[12:13], s[12:13], s[0:1]
.LBB2_138:                              ;   in Loop: Header=BB2_6 Depth=1
	s_or_b64 exec, exec, s[64:65]
	s_and_saveexec_b64 s[0:1], s[12:13]
	s_cbranch_execz .LBB2_140
; %bb.139:                              ;   in Loop: Header=BB2_6 Depth=1
	v_mov_b32_e32 v8, v25
	s_waitcnt lgkmcnt(0)
	v_mov_b32_e32 v28, v26
	ds_write_b32 v7, v25
	ds_write_b32 v4, v26
.LBB2_140:                              ;   in Loop: Header=BB2_6 Depth=1
	s_or_b64 exec, exec, s[0:1]
	ds_read_b32 v25, v7 offset:64
	s_waitcnt lgkmcnt(1)
	;; [unrolled: 28-line block ×6, first 2 shown]
	ds_read_b32 v26, v4 offset:4
	s_waitcnt lgkmcnt(1)
	v_cmp_eq_f32_e64 s[0:1], v8, v25
	s_waitcnt lgkmcnt(0)
	v_cmp_gt_i32_e64 s[12:13], v28, v26
	v_cmp_lt_f32_e32 vcc, v8, v25
	s_and_b64 s[0:1], s[0:1], s[12:13]
	s_or_b64 s[0:1], vcc, s[0:1]
	s_and_b64 exec, exec, s[0:1]
	s_cbranch_execz .LBB2_158
; %bb.157:                              ;   in Loop: Header=BB2_6 Depth=1
	ds_write_b32 v7, v25
	ds_write_b32 v4, v26
.LBB2_158:                              ;   in Loop: Header=BB2_6 Depth=1
	s_or_b64 exec, exec, s[62:63]
.LBB2_159:                              ;   in Loop: Header=BB2_6 Depth=1
	s_and_saveexec_b64 s[0:1], s[10:11]
	s_cbranch_execz .LBB2_161
; %bb.160:                              ;   in Loop: Header=BB2_6 Depth=1
	ds_read_b32 v8, v9 offset:2064
	ds_read_b32 v25, v9 offset:1024
	s_waitcnt lgkmcnt(0)
	v_cmp_lt_f32_e32 vcc, v8, v25
	s_nop 1
	v_cndmask_b32_e32 v8, v8, v25, vcc
	ds_write_b32 v9, v8 offset:2064
.LBB2_161:                              ;   in Loop: Header=BB2_6 Depth=1
	s_or_b64 exec, exec, s[0:1]
.LBB2_162:                              ;   in Loop: Header=BB2_6 Depth=1
	s_waitcnt lgkmcnt(0)
	s_barrier
	ds_read_b64 v[26:27], v9 offset:2056
	ds_read_b32 v25, v9 offset:2064
	s_waitcnt lgkmcnt(1)
	v_mul_f32_e32 v29, 0x3f23f07b, v27
	s_waitcnt lgkmcnt(0)
	v_div_scale_f32 v8, s[0:1], v25, v25, v27
	v_rcp_f32_e32 v28, v8
	s_nop 0
	v_fma_f32 v30, -v8, v28, 1.0
	v_fmac_f32_e32 v28, v30, v28
	v_div_scale_f32 v30, vcc, v27, v25, v27
	v_mul_f32_e32 v31, v30, v28
	v_fma_f32 v32, -v8, v31, v30
	v_fmac_f32_e32 v31, v32, v28
	v_fma_f32 v8, -v8, v31, v30
	v_div_fmas_f32 v8, v8, v28, v31
	v_div_fixup_f32 v8, v8, v25, v27
	v_mul_f32_e32 v8, v29, v8
	v_cmp_ge_f32_e32 vcc, v26, v8
	s_cbranch_vccnz .LBB2_169
; %bb.163:                              ;   in Loop: Header=BB2_6 Depth=1
	ds_read_b32 v26, v9 offset:2048
	v_mul_f32_e32 v25, 0x3f23f07b, v25
	v_mov_b32_e32 v8, 2
	s_mov_b64 s[0:1], 0
	s_waitcnt lgkmcnt(0)
	v_add_u32_e32 v28, v26, v24
	v_ashrrev_i32_e32 v29, 31, v28
	v_lshl_add_u64 v[28:29], v[28:29], 2, s[30:31]
	global_load_dword v27, v[28:29], off
	s_waitcnt vmcnt(0)
	v_cmp_ge_f32_e64 s[62:63], |v27|, v25
	s_and_saveexec_b64 s[12:13], s[62:63]
	s_cbranch_execz .LBB2_168
; %bb.164:                              ;   in Loop: Header=BB2_6 Depth=1
	s_and_saveexec_b64 s[0:1], s[8:9]
	s_cbranch_execz .LBB2_167
; %bb.165:                              ;   in Loop: Header=BB2_6 Depth=1
	v_mad_u64_u32 v[28:29], s[8:9], s70, v2, v[0:1]
	v_add3_u32 v24, v0, v2, v24
	v_ashrrev_i32_e32 v29, 31, v28
	v_ashrrev_i32_e32 v25, 31, v24
	v_lshl_add_u64 v[28:29], v[28:29], 2, s[44:45]
	v_lshl_add_u64 v[24:25], v[24:25], 2, s[44:45]
	s_mov_b64 s[8:9], 0
	v_mov_b32_e32 v8, v0
.LBB2_166:                              ;   Parent Loop BB2_6 Depth=1
                                        ; =>  This Inner Loop Header: Depth=2
	global_load_dword v27, v[24:25], off
	v_add_u32_e32 v8, 0x100, v8
	v_cmp_ge_i32_e32 vcc, v8, v39
	v_lshl_add_u64 v[24:25], v[24:25], 0, s[56:57]
	s_or_b64 s[8:9], vcc, s[8:9]
	s_waitcnt vmcnt(0)
	global_store_dword v[28:29], v27, off
	v_lshl_add_u64 v[28:29], v[28:29], 0, s[56:57]
	s_andn2_b64 exec, exec, s[8:9]
	s_cbranch_execnz .LBB2_166
.LBB2_167:                              ;   in Loop: Header=BB2_6 Depth=1
	s_or_b64 exec, exec, s[0:1]
	s_mov_b64 s[0:1], exec
	v_mov_b32_e32 v8, 1
	s_barrier
.LBB2_168:                              ;   in Loop: Header=BB2_6 Depth=1
	s_or_b64 exec, exec, s[12:13]
	s_branch .LBB2_170
.LBB2_169:                              ;   in Loop: Header=BB2_6 Depth=1
	s_mov_b64 s[0:1], -1
	v_mov_b32_e32 v8, 1
	v_mov_b32_e32 v26, v2
.LBB2_170:                              ;   in Loop: Header=BB2_6 Depth=1
	v_add_u32_e32 v24, v8, v2
	v_add_u32_e32 v25, -1, v24
	v_cmp_ne_u32_e32 vcc, v26, v25
	s_and_saveexec_b64 s[8:9], vcc
	s_cbranch_execz .LBB2_186
; %bb.171:                              ;   in Loop: Header=BB2_6 Depth=1
	s_and_saveexec_b64 s[12:13], s[10:11]
	s_cbranch_execz .LBB2_173
; %bb.172:                              ;   in Loop: Header=BB2_6 Depth=1
	v_mul_lo_u32 v28, v25, s68
	v_ashrrev_i32_e32 v29, 31, v28
	v_lshl_add_u64 v[28:29], v[28:29], 2, s[24:25]
	global_load_dword v27, v[28:29], off
	v_mul_lo_u32 v28, v26, s68
	v_ashrrev_i32_e32 v29, 31, v28
	v_lshl_add_u64 v[28:29], v[28:29], 2, s[24:25]
	s_waitcnt vmcnt(0)
	global_store_dword v[28:29], v27, off
.LBB2_173:                              ;   in Loop: Header=BB2_6 Depth=1
	s_or_b64 exec, exec, s[12:13]
	v_sub_u32_e32 v27, v26, v24
	v_cmp_lt_i32_e32 vcc, v0, v27
	s_and_saveexec_b64 s[12:13], vcc
	s_cbranch_execz .LBB2_176
; %bb.174:                              ;   in Loop: Header=BB2_6 Depth=1
	v_add3_u32 v28, v0, v8, v2
	v_mad_u64_u32 v[28:29], s[62:63], s27, v28, v[26:27]
	v_mad_u64_u32 v[30:31], s[62:63], v25, s27, v[24:25]
	s_mov_b64 s[62:63], 0
	v_mov_b32_e32 v31, v0
.LBB2_175:                              ;   Parent Loop BB2_6 Depth=1
                                        ; =>  This Inner Loop Header: Depth=2
	v_add_u32_e32 v32, v30, v31
	v_ashrrev_i32_e32 v33, 31, v32
	v_lshl_add_u64 v[32:33], v[32:33], 2, s[24:25]
	global_load_dword v34, v[32:33], off
	v_add_u32_e32 v31, 0x100, v31
	v_ashrrev_i32_e32 v29, 31, v28
	v_cmp_ge_i32_e32 vcc, v31, v27
	v_lshl_add_u64 v[32:33], v[28:29], 2, s[24:25]
	v_add_u32_e32 v28, s71, v28
	s_or_b64 s[62:63], vcc, s[62:63]
	s_waitcnt vmcnt(0)
	global_store_dword v[32:33], v34, off
	s_andn2_b64 exec, exec, s[62:63]
	s_cbranch_execnz .LBB2_175
.LBB2_176:                              ;   in Loop: Header=BB2_6 Depth=1
	s_or_b64 exec, exec, s[12:13]
	v_xad_u32 v27, v26, -1, s28
	v_cmp_lt_i32_e32 vcc, v0, v27
	s_and_saveexec_b64 s[12:13], vcc
	s_cbranch_execz .LBB2_179
; %bb.177:                              ;   in Loop: Header=BB2_6 Depth=1
	v_mul_lo_u32 v25, v25, s27
	v_mad_u64_u32 v[28:29], s[62:63], s68, v26, 1
	v_add3_u32 v25, v26, v25, 1
	s_mov_b64 s[62:63], 0
	v_mov_b32_e32 v29, v0
.LBB2_178:                              ;   Parent Loop BB2_6 Depth=1
                                        ; =>  This Inner Loop Header: Depth=2
	v_add_u32_e32 v30, v25, v29
	v_ashrrev_i32_e32 v31, 31, v30
	v_lshl_add_u64 v[30:31], v[30:31], 2, s[24:25]
	global_load_dword v32, v[30:31], off
	v_add_u32_e32 v30, v28, v29
	v_add_u32_e32 v29, 0x100, v29
	v_ashrrev_i32_e32 v31, 31, v30
	v_cmp_ge_i32_e32 vcc, v29, v27
	v_lshl_add_u64 v[30:31], v[30:31], 2, s[24:25]
	s_or_b64 s[62:63], vcc, s[62:63]
	s_waitcnt vmcnt(0)
	global_store_dword v[30:31], v32, off
	s_andn2_b64 exec, exec, s[62:63]
	s_cbranch_execnz .LBB2_178
.LBB2_179:                              ;   in Loop: Header=BB2_6 Depth=1
	s_or_b64 exec, exec, s[12:13]
	v_cmp_lt_u32_e32 vcc, v0, v2
	s_barrier
	s_and_saveexec_b64 s[12:13], vcc
	s_cbranch_execz .LBB2_182
; %bb.180:                              ;   in Loop: Header=BB2_6 Depth=1
	v_ashrrev_i32_e32 v25, 31, v24
	s_mov_b64 s[62:63], 0
	v_mov_b32_e32 v28, v5
	v_mov_b32_e32 v27, v0
.LBB2_181:                              ;   Parent Loop BB2_6 Depth=1
                                        ; =>  This Inner Loop Header: Depth=2
	v_add_u32_e32 v32, v26, v28
	v_ashrrev_i32_e32 v29, 31, v28
	v_ashrrev_i32_e32 v33, 31, v32
	v_lshl_add_u64 v[30:31], v[28:29], 0, v[24:25]
	v_lshl_add_u64 v[32:33], v[32:33], 2, s[24:25]
	;; [unrolled: 1-line block ×3, first 2 shown]
	global_load_dword v29, v[32:33], off
	global_load_dword v34, v[30:31], off offset:-4
	v_add_u32_e32 v27, 0x100, v27
	v_cmp_ge_u32_e32 vcc, v27, v2
	s_or_b64 s[62:63], vcc, s[62:63]
	v_add_u32_e32 v28, s71, v28
	s_waitcnt vmcnt(1)
	global_store_dword v[30:31], v29, off offset:-4
	s_waitcnt vmcnt(1)
	global_store_dword v[32:33], v34, off
	s_andn2_b64 exec, exec, s[62:63]
	s_cbranch_execnz .LBB2_181
.LBB2_182:                              ;   in Loop: Header=BB2_6 Depth=1
	s_or_b64 exec, exec, s[12:13]
	v_cmp_lt_u32_e32 vcc, v0, v24
	s_and_b64 exec, exec, vcc
	s_cbranch_execz .LBB2_185
; %bb.183:                              ;   in Loop: Header=BB2_6 Depth=1
	v_lshl_add_u64 v[28:29], v[16:17], 0, v[8:9]
	v_add_u32_e32 v30, v16, v26
	v_lshl_add_u64 v[28:29], v[28:29], 0, v[2:3]
	v_ashrrev_i32_e32 v31, 31, v30
	v_lshl_add_u64 v[28:29], v[28:29], 2, -4
	v_lshlrev_b64 v[30:31], 2, v[30:31]
	s_mov_b64 s[12:13], 0
	s_mov_b64 s[62:63], s[30:31]
	v_mov_b32_e32 v8, v0
.LBB2_184:                              ;   Parent Loop BB2_6 Depth=1
                                        ; =>  This Inner Loop Header: Depth=2
	v_lshl_add_u64 v[34:35], s[62:63], 0, v[30:31]
	v_lshl_add_u64 v[32:33], s[62:63], 0, v[28:29]
	global_load_dword v25, v[34:35], off
	global_load_dword v27, v[32:33], off
	v_add_u32_e32 v8, 0x100, v8
	s_add_u32 s62, s62, s52
	s_addc_u32 s63, s63, s53
	v_cmp_ge_u32_e32 vcc, v8, v24
	s_or_b64 s[12:13], vcc, s[12:13]
	s_waitcnt vmcnt(1)
	global_store_dword v[32:33], v25, off
	s_waitcnt vmcnt(1)
	global_store_dword v[34:35], v27, off
	s_andn2_b64 exec, exec, s[12:13]
	s_cbranch_execnz .LBB2_184
.LBB2_185:                              ;   in Loop: Header=BB2_6 Depth=1
	s_barrier
.LBB2_186:                              ;   in Loop: Header=BB2_6 Depth=1
	s_or_b64 exec, exec, s[8:9]
	s_xor_b64 s[0:1], s[0:1], -1
	s_and_saveexec_b64 s[8:9], s[0:1]
	s_xor_b64 s[8:9], exec, s[8:9]
	s_cbranch_execz .LBB2_194
; %bb.187:                              ;   in Loop: Header=BB2_6 Depth=1
	v_cmp_gt_i32_e32 vcc, s69, v2
	s_and_saveexec_b64 s[12:13], vcc
	s_cbranch_execz .LBB2_191
; %bb.188:                              ;   in Loop: Header=BB2_6 Depth=1
	v_add_u32_e32 v27, v2, v6
	v_cmp_gt_i32_e32 vcc, s28, v27
	s_and_b64 exec, exec, vcc
	s_cbranch_execz .LBB2_191
; %bb.189:                              ;   in Loop: Header=BB2_6 Depth=1
	v_mul_lo_u32 v8, v38, s28
	global_load_dwordx2 v[28:29], v[18:19], off
	v_lshl_add_u64 v[20:21], v[8:9], 2, v[22:23]
	global_load_dword v21, v[20:21], off offset:4
	v_mul_lo_u32 v22, s68, v2
	v_add_u32_e32 v8, v27, v8
	v_add_u32_e32 v20, v36, v22
	;; [unrolled: 1-line block ×3, first 2 shown]
	v_lshl_add_u64 v[22:23], v[8:9], 2, s[44:45]
	v_mad_u64_u32 v[24:25], s[0:1], s70, v2, v[6:7]
	v_ashrrev_i32_e32 v33, 31, v32
	v_ashrrev_i32_e32 v25, 31, v24
	v_lshl_add_u64 v[24:25], v[24:25], 2, s[44:45]
	s_waitcnt vmcnt(1)
	v_div_scale_f32 v8, s[0:1], v29, v29, v28
	v_rcp_f32_e32 v31, v8
	s_waitcnt vmcnt(0)
	v_div_scale_f32 v34, s[62:63], v29, v29, v21
	v_rcp_f32_e32 v35, v34
	v_fma_f32 v39, -v8, v31, 1.0
	v_div_scale_f32 v30, s[0:1], v28, v29, v28
	v_fmac_f32_e32 v31, v39, v31
	v_fma_f32 v39, -v34, v35, 1.0
	v_div_scale_f32 v37, vcc, v21, v29, v21
	v_mul_f32_e32 v40, v30, v31
	v_fmac_f32_e32 v35, v39, v35
	v_fma_f32 v39, -v8, v40, v30
	v_mul_f32_e32 v41, v37, v35
	v_fmac_f32_e32 v40, v39, v31
	v_fma_f32 v39, -v34, v41, v37
	v_fmac_f32_e32 v41, v39, v35
	v_fma_f32 v30, -v8, v40, v30
	v_fma_f32 v8, -v34, v41, v37
	v_div_fmas_f32 v8, v8, v35, v41
	s_mov_b64 vcc, s[0:1]
	v_div_fixup_f32 v8, v8, v29, v21
	v_div_fmas_f32 v21, v30, v31, v40
	v_div_fixup_f32 v30, v21, v29, v28
	v_fma_f32 v21, v8, v30, -1.0
	v_mul_f32_e32 v21, v29, v21
	v_div_scale_f32 v31, s[0:1], v21, v21, 1.0
	v_rcp_f32_e32 v34, v31
	v_lshl_add_u64 v[28:29], v[32:33], 2, s[46:47]
	v_div_scale_f32 v32, vcc, 1.0, v21, 1.0
	v_fma_f32 v33, -v31, v34, 1.0
	v_fmac_f32_e32 v34, v33, v34
	v_mul_f32_e32 v33, v32, v34
	v_fma_f32 v35, -v31, v33, v32
	v_fmac_f32_e32 v33, v35, v34
	v_fma_f32 v31, -v31, v33, v32
	v_div_fmas_f32 v31, v31, v34, v33
	v_div_fixup_f32 v31, v31, v21, 1.0
	s_mov_b64 s[0:1], 0
.LBB2_190:                              ;   Parent Loop BB2_6 Depth=1
                                        ; =>  This Inner Loop Header: Depth=2
	global_load_dword v21, v[24:25], off
	global_load_dword v32, v[22:23], off
	v_add_u32_e32 v27, 0x100, v27
	v_cmp_le_i32_e32 vcc, s28, v27
	s_or_b64 s[0:1], vcc, s[0:1]
	s_waitcnt vmcnt(0)
	v_fma_f32 v21, v8, v21, -v32
	v_mul_f32_e32 v21, v31, v21
	global_store_dword v[28:29], v21, off
	global_load_dword v34, v[22:23], off
	global_load_dword v35, v[24:25], off
	v_ashrrev_i32_e32 v21, 31, v20
	v_lshl_add_u64 v[32:33], v[20:21], 2, s[24:25]
	v_add_u32_e32 v20, 0x100, v20
	v_lshl_add_u64 v[28:29], v[28:29], 0, s[56:57]
	v_lshl_add_u64 v[22:23], v[22:23], 0, s[56:57]
	;; [unrolled: 1-line block ×3, first 2 shown]
	s_waitcnt vmcnt(0)
	v_fma_f32 v21, v30, v34, -v35
	v_mul_f32_e32 v21, v31, v21
	global_store_dword v[32:33], v21, off
	s_andn2_b64 exec, exec, s[0:1]
	s_cbranch_execnz .LBB2_190
.LBB2_191:                              ;   in Loop: Header=BB2_6 Depth=1
	s_or_b64 exec, exec, s[12:13]
	s_and_saveexec_b64 s[0:1], s[10:11]
	s_cbranch_execz .LBB2_193
; %bb.192:                              ;   in Loop: Header=BB2_6 Depth=1
	global_load_dword v8, v[18:19], off
	v_mul_lo_u32 v22, v2, s27
	v_lshl_add_u64 v[20:21], v[2:3], 2, s[24:25]
	v_ashrrev_i32_e32 v23, 31, v22
	v_lshl_add_u64 v[20:21], v[22:23], 2, v[20:21]
	s_waitcnt vmcnt(0)
	global_store_dword v[20:21], v8, off
	global_load_dword v8, v[18:19], off offset:4
	v_mul_lo_u32 v18, v38, s70
	v_ashrrev_i32_e32 v19, 31, v18
	v_lshl_add_u64 v[18:19], v[18:19], 2, s[30:31]
	s_waitcnt vmcnt(0)
	global_store_dword v[20:21], v8, off offset:4
	global_load_dword v8, v[18:19], off
	v_mul_lo_u32 v18, v38, s68
	v_ashrrev_i32_e32 v19, 31, v18
	v_lshl_add_u64 v[18:19], v[18:19], 2, s[24:25]
	s_waitcnt vmcnt(0)
	global_store_dword v[18:19], v8, off
.LBB2_193:                              ;   in Loop: Header=BB2_6 Depth=1
	s_or_b64 exec, exec, s[0:1]
	s_barrier
                                        ; implicit-def: $vgpr18_vgpr19
                                        ; implicit-def: $vgpr20_vgpr21
                                        ; implicit-def: $vgpr37
.LBB2_194:                              ;   in Loop: Header=BB2_6 Depth=1
	s_or_saveexec_b64 s[8:9], s[8:9]
	s_mov_b64 s[0:1], 0
	v_mov_b32_e32 v8, 2
	s_mov_b64 s[12:13], 0
	s_xor_b64 exec, exec, s[8:9]
	s_cbranch_execz .LBB2_201
; %bb.195:                              ;   in Loop: Header=BB2_6 Depth=1
	global_load_dword v8, v[18:19], off
	s_and_saveexec_b64 s[12:13], s[10:11]
	s_cbranch_execz .LBB2_197
; %bb.196:                              ;   in Loop: Header=BB2_6 Depth=1
	v_mul_lo_u32 v18, v2, s68
	v_ashrrev_i32_e32 v19, 31, v18
	v_lshl_add_u64 v[18:19], v[18:19], 2, s[24:25]
	s_waitcnt vmcnt(0)
	global_store_dword v[18:19], v8, off
.LBB2_197:                              ;   in Loop: Header=BB2_6 Depth=1
	s_or_b64 exec, exec, s[12:13]
	s_and_saveexec_b64 s[12:13], s[6:7]
	s_cbranch_execz .LBB2_200
; %bb.198:                              ;   in Loop: Header=BB2_6 Depth=1
	s_waitcnt vmcnt(0)
	v_div_scale_f32 v18, s[6:7], v8, v8, 1.0
	v_rcp_f32_e32 v19, v18
	v_div_scale_f32 v22, vcc, 1.0, v8, 1.0
	s_mov_b64 s[6:7], 0
	v_fma_f32 v23, -v18, v19, 1.0
	v_fmac_f32_e32 v19, v23, v19
	v_mul_f32_e32 v23, v22, v19
	v_fma_f32 v24, -v18, v23, v22
	v_fmac_f32_e32 v23, v24, v19
	v_fma_f32 v18, -v18, v23, v22
	v_div_fmas_f32 v18, v18, v19, v23
	v_div_fixup_f32 v22, v18, v8, 1.0
	v_mul_lo_u32 v18, v2, s27
	v_ashrrev_i32_e32 v19, 31, v18
	v_mov_b32_e32 v23, v0
.LBB2_199:                              ;   Parent Loop BB2_6 Depth=1
                                        ; =>  This Inner Loop Header: Depth=2
	v_add_u32_e32 v8, v2, v23
	v_lshl_add_u64 v[24:25], v[8:9], 0, v[20:21]
	v_lshl_add_u64 v[24:25], v[24:25], 2, s[30:31]
	global_load_dword v27, v[24:25], off offset:4
	v_add_u32_e32 v23, 0x100, v23
	v_lshl_add_u64 v[24:25], v[8:9], 0, v[18:19]
	v_cmp_ge_i32_e32 vcc, v23, v37
	v_lshl_add_u64 v[24:25], v[24:25], 2, s[24:25]
	s_or_b64 s[6:7], vcc, s[6:7]
	s_waitcnt vmcnt(0)
	v_mul_f32_e32 v8, v22, v27
	global_store_dword v[24:25], v8, off offset:4
	s_andn2_b64 exec, exec, s[6:7]
	s_cbranch_execnz .LBB2_199
.LBB2_200:                              ;   in Loop: Header=BB2_6 Depth=1
	s_or_b64 exec, exec, s[12:13]
	s_mov_b64 s[12:13], exec
	s_waitcnt vmcnt(0)
	v_mov_b32_e32 v8, 1
	s_barrier
.LBB2_201:                              ;   in Loop: Header=BB2_6 Depth=1
	s_or_b64 exec, exec, s[8:9]
	s_and_b64 vcc, exec, s[0:1]
	s_cbranch_vccz .LBB2_205
.LBB2_202:                              ;   in Loop: Header=BB2_6 Depth=1
	ds_read_b32 v8, v9 offset:2052
	s_waitcnt lgkmcnt(0)
	v_readfirstlane_b32 s0, v8
	s_cmp_eq_u32 s0, 0
	s_cselect_b64 s[0:1], -1, 0
	s_and_b64 s[6:7], s[10:11], s[0:1]
	s_and_saveexec_b64 s[0:1], s[6:7]
; %bb.203:                              ;   in Loop: Header=BB2_6 Depth=1
	ds_write_b32 v9, v38 offset:2052
; %bb.204:                              ;   in Loop: Header=BB2_6 Depth=1
	s_or_b64 exec, exec, s[0:1]
	v_mov_b32_e32 v8, 1
	s_mov_b64 s[12:13], -1
	v_mov_b32_e32 v26, v2
.LBB2_205:                              ;   in Loop: Header=BB2_6 Depth=1
	s_and_saveexec_b64 s[0:1], s[10:11]
	s_cbranch_execz .LBB2_4
; %bb.206:                              ;   in Loop: Header=BB2_6 Depth=1
	s_xor_b64 s[6:7], s[12:13], -1
	v_lshl_add_u64 v[18:19], v[2:3], 2, s[14:15]
	s_and_saveexec_b64 s[8:9], s[6:7]
	s_xor_b64 s[6:7], exec, s[8:9]
	s_cbranch_execz .LBB2_208
; %bb.207:                              ;   in Loop: Header=BB2_6 Depth=1
	v_not_b32_e32 v20, v26
	v_mov_b32_e32 v21, v20
	global_store_dwordx2 v[18:19], v[20:21], off
                                        ; implicit-def: $vgpr26
                                        ; implicit-def: $vgpr18_vgpr19
.LBB2_208:                              ;   in Loop: Header=BB2_6 Depth=1
	s_andn2_saveexec_b64 s[6:7], s[6:7]
	s_cbranch_execz .LBB2_4
; %bb.209:                              ;   in Loop: Header=BB2_6 Depth=1
	v_add_u32_e32 v3, 1, v26
	global_store_dword v[18:19], v3, off
	s_branch .LBB2_4
.LBB2_210:
	s_or_b64 exec, exec, s[54:55]
	s_and_saveexec_b64 s[0:1], s[10:11]
	s_cbranch_execz .LBB2_212
.LBB2_211:
	v_mov_b32_e32 v3, 0
	s_lshl_b64 s[2:3], s[40:41], 2
	ds_read_b32 v5, v3 offset:2052
	s_add_u32 s4, s20, s2
	s_addc_u32 s5, s21, s3
	s_add_u32 s2, s18, s2
	s_addc_u32 s3, s19, s3
	global_store_dword v3, v2, s[4:5]
	s_waitcnt lgkmcnt(0)
	global_store_dword v3, v5, s[2:3]
.LBB2_212:
	s_or_b64 exec, exec, s[0:1]
	v_cmp_gt_i32_e32 vcc, s28, v2
	s_and_saveexec_b64 s[2:3], vcc
	s_cbranch_execz .LBB2_233
; %bb.213:
	v_ashrrev_i32_e32 v3, 31, v2
	s_add_u32 s0, s34, s42
	v_lshlrev_b64 v[8:9], 2, v[2:3]
	s_addc_u32 s1, s35, s43
	v_lshl_add_u64 v[6:7], s[0:1], 0, v[8:9]
	s_ashr_i32 s1, s29, 31
	s_mov_b32 s0, s29
	s_lshl_b64 s[4:5], s[0:1], 2
	s_ashr_i32 s1, s28, 31
	s_mov_b32 s0, s28
	s_lshl_b64 s[6:7], s[0:1], 2
	s_add_u32 s0, s36, s38
	s_addc_u32 s1, s37, s39
	v_lshl_add_u64 v[8:9], s[0:1], 0, v[8:9]
	v_mov_b32_e32 v5, 0
	v_lshl_add_u64 v[8:9], v[8:9], 0, v[4:5]
	s_ashr_i32 s1, s27, 31
	s_mov_b32 s0, s27
	v_cmp_ne_u32_e32 vcc, 0, v2
	v_lshl_add_u64 v[8:9], s[22:23], 0, v[8:9]
	s_lshl_b64 s[8:9], s[0:1], 2
	s_mov_b64 s[10:11], 0
	s_mov_b64 s[12:13], 0x400
	v_mov_b32_e32 v10, v2
	s_branch .LBB2_215
.LBB2_214:                              ;   in Loop: Header=BB2_215 Depth=1
	s_or_b64 exec, exec, s[16:17]
	v_add_u32_e32 v10, s29, v10
	v_cmp_le_i32_e64 s[0:1], s28, v10
	v_lshl_add_u64 v[6:7], v[6:7], 0, s[4:5]
	s_or_b64 s[10:11], s[0:1], s[10:11]
	v_lshl_add_u64 v[8:9], v[8:9], 0, s[4:5]
	s_andn2_b64 exec, exec, s[10:11]
	s_cbranch_execz .LBB2_233
.LBB2_215:                              ; =>This Loop Header: Depth=1
                                        ;     Child Loop BB2_218 Depth 2
                                        ;       Child Loop BB2_221 Depth 3
                                        ;         Child Loop BB2_223 Depth 4
                                        ;     Child Loop BB2_229 Depth 2
                                        ;       Child Loop BB2_231 Depth 3
	v_sub_u32_e32 v3, s28, v10
	v_min_i32_e32 v11, s29, v3
	v_add_u32_e32 v12, v11, v10
	v_cmp_lt_i32_e64 s[0:1], 0, v11
	s_and_saveexec_b64 s[16:17], s[0:1]
	s_cbranch_execz .LBB2_225
; %bb.216:                              ;   in Loop: Header=BB2_215 Depth=1
	s_mov_b64 s[18:19], 0
	v_mov_b64_e32 v[14:15], v[8:9]
	v_mov_b64_e32 v[16:17], v[6:7]
	v_mov_b32_e32 v18, v10
	s_branch .LBB2_218
.LBB2_217:                              ;   in Loop: Header=BB2_218 Depth=2
	s_or_b64 exec, exec, s[20:21]
	v_add_u32_e32 v18, 1, v18
	v_cmp_ge_i32_e64 s[0:1], v18, v12
	v_lshl_add_u64 v[16:17], v[16:17], 0, 4
	s_or_b64 s[18:19], s[0:1], s[18:19]
	v_lshl_add_u64 v[14:15], v[14:15], 0, 4
	s_andn2_b64 exec, exec, s[18:19]
	s_cbranch_execz .LBB2_225
.LBB2_218:                              ;   Parent Loop BB2_215 Depth=1
                                        ; =>  This Loop Header: Depth=2
                                        ;       Child Loop BB2_221 Depth 3
                                        ;         Child Loop BB2_223 Depth 4
	v_sub_u32_e32 v13, v12, v18
	v_cmp_lt_i32_e64 s[0:1], v0, v13
	s_and_saveexec_b64 s[20:21], s[0:1]
	s_cbranch_execz .LBB2_217
; %bb.219:                              ;   in Loop: Header=BB2_218 Depth=2
	v_ashrrev_i32_e32 v19, 31, v18
	v_mul_lo_u32 v22, v18, s27
	v_lshl_add_u64 v[20:21], v[18:19], 2, s[24:25]
	v_ashrrev_i32_e32 v23, 31, v22
	v_lshl_add_u64 v[20:21], v[22:23], 2, v[20:21]
	s_mov_b64 s[22:23], 0
	v_mov_b64_e32 v[22:23], v[14:15]
	v_mov_b32_e32 v4, v0
	s_branch .LBB2_221
.LBB2_220:                              ;   in Loop: Header=BB2_221 Depth=3
	s_or_b64 exec, exec, s[34:35]
	v_lshl_add_u64 v[24:25], v[4:5], 2, v[20:21]
	global_load_dword v26, v[24:25], off
	v_add_u32_e32 v4, 0x100, v4
	v_cmp_ge_i32_e64 s[0:1], v4, v13
	s_or_b64 s[22:23], s[0:1], s[22:23]
	v_lshl_add_u64 v[22:23], v[22:23], 0, s[12:13]
	s_waitcnt vmcnt(0)
	v_sub_f32_e32 v19, v26, v19
	global_store_dword v[24:25], v19, off
	s_andn2_b64 exec, exec, s[22:23]
	s_cbranch_execz .LBB2_217
.LBB2_221:                              ;   Parent Loop BB2_215 Depth=1
                                        ;     Parent Loop BB2_218 Depth=2
                                        ; =>    This Loop Header: Depth=3
                                        ;         Child Loop BB2_223 Depth 4
	v_mov_b32_e32 v19, 0
	s_and_saveexec_b64 s[34:35], vcc
	s_cbranch_execz .LBB2_220
; %bb.222:                              ;   in Loop: Header=BB2_221 Depth=3
	v_mov_b32_e32 v19, 0
	s_mov_b64 s[36:37], 0
	v_mov_b64_e32 v[24:25], v[22:23]
	v_mov_b64_e32 v[26:27], v[16:17]
	v_mov_b32_e32 v28, v2
.LBB2_223:                              ;   Parent Loop BB2_215 Depth=1
                                        ;     Parent Loop BB2_218 Depth=2
                                        ;       Parent Loop BB2_221 Depth=3
                                        ; =>      This Inner Loop Header: Depth=4
	global_load_dword v29, v[24:25], off
	global_load_dword v30, v[26:27], off
	v_add_u32_e32 v28, -1, v28
	v_cmp_eq_u32_e64 s[0:1], 0, v28
	v_lshl_add_u64 v[26:27], v[26:27], 0, s[6:7]
	v_lshl_add_u64 v[24:25], v[24:25], 0, s[8:9]
	s_or_b64 s[36:37], s[0:1], s[36:37]
	s_waitcnt vmcnt(0)
	v_fmac_f32_e32 v19, v29, v30
	s_andn2_b64 exec, exec, s[36:37]
	s_cbranch_execnz .LBB2_223
; %bb.224:                              ;   in Loop: Header=BB2_221 Depth=3
	s_or_b64 exec, exec, s[36:37]
	s_branch .LBB2_220
.LBB2_225:                              ;   in Loop: Header=BB2_215 Depth=1
	s_or_b64 exec, exec, s[16:17]
	v_cmp_gt_i32_e64 s[0:1], s28, v12
	s_and_saveexec_b64 s[16:17], s[0:1]
	s_cbranch_execz .LBB2_214
; %bb.226:                              ;   in Loop: Header=BB2_215 Depth=1
	v_sub_u32_e32 v3, v3, v11
	v_mul_lo_u32 v19, v3, v11
	v_cmp_lt_i32_e64 s[0:1], v0, v19
	s_and_b64 exec, exec, s[0:1]
	s_cbranch_execz .LBB2_214
; %bb.227:                              ;   in Loop: Header=BB2_215 Depth=1
	v_sub_u32_e32 v4, 0, v3
	v_max_i32_e32 v24, v3, v4
	v_cvt_f32_u32_e32 v4, v24
	v_ashrrev_i32_e32 v11, 31, v10
	v_lshl_add_u64 v[14:15], v[10:11], 2, s[30:31]
	v_sub_u32_e32 v11, 0, v24
	v_rcp_iflag_f32_e32 v4, v4
	v_ashrrev_i32_e32 v13, 31, v12
	v_mul_lo_u32 v16, v10, s27
	v_lshl_add_u64 v[12:13], v[12:13], 2, s[24:25]
	v_mul_f32_e32 v4, 0x4f7ffffe, v4
	v_cvt_u32_f32_e32 v4, v4
	v_ashrrev_i32_e32 v17, 31, v16
	v_ashrrev_i32_e32 v25, 31, v3
	v_lshl_add_u64 v[16:17], v[16:17], 2, v[12:13]
	v_mul_lo_u32 v11, v11, v4
	v_mul_hi_u32 v11, v4, v11
	v_add_u32_e32 v4, v4, v11
	s_mov_b64 s[18:19], 0
	v_mov_b32_e32 v11, v0
	s_branch .LBB2_229
.LBB2_228:                              ;   in Loop: Header=BB2_229 Depth=2
	s_or_b64 exec, exec, s[20:21]
	v_mad_u64_u32 v[20:21], s[0:1], v27, s27, v[18:19]
	v_ashrrev_i32_e32 v21, 31, v20
	v_lshl_add_u64 v[20:21], v[20:21], 2, v[16:17]
	global_load_dword v18, v[20:21], off
	v_add_u32_e32 v11, 0x100, v11
	v_cmp_ge_i32_e64 s[0:1], v11, v19
	s_or_b64 s[18:19], s[0:1], s[18:19]
	s_waitcnt vmcnt(0)
	v_sub_f32_e32 v18, v18, v26
	global_store_dword v[20:21], v18, off
	s_andn2_b64 exec, exec, s[18:19]
	s_cbranch_execz .LBB2_214
.LBB2_229:                              ;   Parent Loop BB2_215 Depth=1
                                        ; =>  This Loop Header: Depth=2
                                        ;       Child Loop BB2_231 Depth 3
	v_mul_hi_u32 v18, v11, v4
	v_mul_lo_u32 v20, v18, v24
	v_sub_u32_e32 v20, v11, v20
	v_add_u32_e32 v21, 1, v18
	v_cmp_ge_u32_e64 s[0:1], v20, v24
	v_mov_b32_e32 v26, 0
	s_nop 0
	v_cndmask_b32_e64 v18, v18, v21, s[0:1]
	v_sub_u32_e32 v21, v20, v24
	v_cndmask_b32_e64 v20, v20, v21, s[0:1]
	v_add_u32_e32 v21, 1, v18
	v_cmp_ge_u32_e64 s[0:1], v20, v24
	s_nop 1
	v_cndmask_b32_e64 v18, v18, v21, s[0:1]
	v_xor_b32_e32 v18, v18, v25
	v_sub_u32_e32 v27, v18, v25
	v_mul_lo_u32 v18, v27, v3
	v_sub_u32_e32 v18, v11, v18
	s_and_saveexec_b64 s[20:21], vcc
	s_cbranch_execz .LBB2_228
; %bb.230:                              ;   in Loop: Header=BB2_229 Depth=2
	v_mov_b32_e32 v26, 0
	s_mov_b64 s[22:23], 0
	v_mov_b32_e32 v20, v18
	v_mov_b32_e32 v22, v27
	;; [unrolled: 1-line block ×3, first 2 shown]
.LBB2_231:                              ;   Parent Loop BB2_215 Depth=1
                                        ;     Parent Loop BB2_229 Depth=2
                                        ; =>    This Inner Loop Header: Depth=3
	v_ashrrev_i32_e32 v21, 31, v20
	v_lshl_add_u64 v[30:31], v[20:21], 2, v[12:13]
	v_ashrrev_i32_e32 v23, 31, v22
	global_load_dword v21, v[30:31], off
	v_lshl_add_u64 v[30:31], v[22:23], 2, v[14:15]
	global_load_dword v23, v[30:31], off
	v_add_u32_e32 v28, -1, v28
	v_cmp_eq_u32_e64 s[0:1], 0, v28
	v_add_u32_e32 v22, s28, v22
	s_or_b64 s[22:23], s[0:1], s[22:23]
	v_add_u32_e32 v20, s27, v20
	s_waitcnt vmcnt(0)
	v_fmac_f32_e32 v26, v21, v23
	s_andn2_b64 exec, exec, s[22:23]
	s_cbranch_execnz .LBB2_231
; %bb.232:                              ;   in Loop: Header=BB2_229 Depth=2
	s_or_b64 exec, exec, s[22:23]
	s_branch .LBB2_228
.LBB2_233:
	s_or_b64 exec, exec, s[2:3]
	v_cmp_lt_i32_e32 vcc, 1, v2
	s_waitcnt lgkmcnt(0)
	s_barrier
	s_and_saveexec_b64 s[0:1], vcc
	s_cbranch_execz .LBB2_241
; %bb.234:
	s_lshl_b32 s6, s27, 8
	s_mov_b64 s[2:3], 0
	v_mov_b32_e32 v5, 0
	s_branch .LBB2_237
.LBB2_235:                              ;   in Loop: Header=BB2_237 Depth=1
	s_barrier
.LBB2_236:                              ;   in Loop: Header=BB2_237 Depth=1
	s_or_b64 exec, exec, s[0:1]
	v_cmp_gt_u32_e32 vcc, 2, v8
	s_or_b64 s[2:3], vcc, s[2:3]
	v_mov_b32_e32 v2, v8
	s_andn2_b64 exec, exec, s[2:3]
	s_cbranch_execz .LBB2_241
.LBB2_237:                              ; =>This Loop Header: Depth=1
                                        ;     Child Loop BB2_240 Depth 2
	v_add_u32_e32 v4, -1, v2
	v_lshl_add_u64 v[6:7], v[4:5], 2, s[14:15]
	global_load_dword v3, v[6:7], off
	v_add_u32_e32 v6, -2, v2
	s_waitcnt vmcnt(0)
	v_not_b32_e32 v7, v3
	v_add_u32_e32 v8, -1, v3
	v_cmp_gt_i32_e32 vcc, 0, v3
	s_nop 1
	v_cndmask_b32_e32 v9, v8, v7, vcc
	v_cndmask_b32_e32 v8, v4, v6, vcc
	v_cmp_ne_u32_e32 vcc, v9, v4
	v_cmp_ne_u32_e64 s[0:1], 0, v8
	s_and_b64 s[4:5], vcc, s[0:1]
	s_and_saveexec_b64 s[0:1], s[4:5]
	s_cbranch_execz .LBB2_236
; %bb.238:                              ;   in Loop: Header=BB2_237 Depth=1
	v_cmp_lt_i32_e32 vcc, v0, v8
	s_and_b64 exec, exec, vcc
	s_cbranch_execz .LBB2_235
; %bb.239:                              ;   in Loop: Header=BB2_237 Depth=1
	v_ashrrev_i32_e32 v3, 31, v2
	s_mov_b64 s[4:5], 0
	v_mov_b32_e32 v6, v1
	v_mov_b32_e32 v4, v0
.LBB2_240:                              ;   Parent Loop BB2_237 Depth=1
                                        ; =>  This Inner Loop Header: Depth=2
	v_ashrrev_i32_e32 v7, 31, v6
	v_add_u32_e32 v10, v9, v6
	v_lshl_add_u64 v[12:13], v[6:7], 0, v[2:3]
	v_ashrrev_i32_e32 v11, 31, v10
	v_lshl_add_u64 v[12:13], v[12:13], 2, s[24:25]
	v_lshl_add_u64 v[10:11], v[10:11], 2, s[24:25]
	global_load_dword v7, v[12:13], off offset:-4
	global_load_dword v14, v[10:11], off
	v_add_u32_e32 v4, 0x100, v4
	v_cmp_ge_i32_e32 vcc, v4, v8
	v_add_u32_e32 v6, s6, v6
	s_or_b64 s[4:5], vcc, s[4:5]
	s_waitcnt vmcnt(1)
	global_store_dword v[10:11], v7, off
	s_waitcnt vmcnt(1)
	global_store_dword v[12:13], v14, off offset:-4
	s_andn2_b64 exec, exec, s[4:5]
	s_cbranch_execnz .LBB2_240
	s_branch .LBB2_235
.LBB2_241:
	s_endpgm
.LBB2_242:
	v_mov_b32_e32 v2, 0
	s_and_saveexec_b64 s[0:1], s[10:11]
	s_cbranch_execnz .LBB2_211
	s_branch .LBB2_212
	.section	.rodata,"a",@progbits
	.p2align	6, 0x0
	.amdhsa_kernel _ZN9rocsolver6v33100L18lasyf_kernel_lowerIfPfEEviiPiT0_iilS3_lS3_PT_
		.amdhsa_group_segment_fixed_size 2068
		.amdhsa_private_segment_fixed_size 0
		.amdhsa_kernarg_size 72
		.amdhsa_user_sgpr_count 2
		.amdhsa_user_sgpr_dispatch_ptr 0
		.amdhsa_user_sgpr_queue_ptr 0
		.amdhsa_user_sgpr_kernarg_segment_ptr 1
		.amdhsa_user_sgpr_dispatch_id 0
		.amdhsa_user_sgpr_kernarg_preload_length 0
		.amdhsa_user_sgpr_kernarg_preload_offset 0
		.amdhsa_user_sgpr_private_segment_size 0
		.amdhsa_uses_dynamic_stack 0
		.amdhsa_enable_private_segment 0
		.amdhsa_system_sgpr_workgroup_id_x 1
		.amdhsa_system_sgpr_workgroup_id_y 1
		.amdhsa_system_sgpr_workgroup_id_z 0
		.amdhsa_system_sgpr_workgroup_info 0
		.amdhsa_system_vgpr_workitem_id 0
		.amdhsa_next_free_vgpr 44
		.amdhsa_next_free_sgpr 73
		.amdhsa_accum_offset 44
		.amdhsa_reserve_vcc 1
		.amdhsa_float_round_mode_32 0
		.amdhsa_float_round_mode_16_64 0
		.amdhsa_float_denorm_mode_32 3
		.amdhsa_float_denorm_mode_16_64 3
		.amdhsa_dx10_clamp 1
		.amdhsa_ieee_mode 1
		.amdhsa_fp16_overflow 0
		.amdhsa_tg_split 0
		.amdhsa_exception_fp_ieee_invalid_op 0
		.amdhsa_exception_fp_denorm_src 0
		.amdhsa_exception_fp_ieee_div_zero 0
		.amdhsa_exception_fp_ieee_overflow 0
		.amdhsa_exception_fp_ieee_underflow 0
		.amdhsa_exception_fp_ieee_inexact 0
		.amdhsa_exception_int_div_zero 0
	.end_amdhsa_kernel
	.section	.text._ZN9rocsolver6v33100L18lasyf_kernel_lowerIfPfEEviiPiT0_iilS3_lS3_PT_,"axG",@progbits,_ZN9rocsolver6v33100L18lasyf_kernel_lowerIfPfEEviiPiT0_iilS3_lS3_PT_,comdat
.Lfunc_end2:
	.size	_ZN9rocsolver6v33100L18lasyf_kernel_lowerIfPfEEviiPiT0_iilS3_lS3_PT_, .Lfunc_end2-_ZN9rocsolver6v33100L18lasyf_kernel_lowerIfPfEEviiPiT0_iilS3_lS3_PT_
                                        ; -- End function
	.set _ZN9rocsolver6v33100L18lasyf_kernel_lowerIfPfEEviiPiT0_iilS3_lS3_PT_.num_vgpr, 44
	.set _ZN9rocsolver6v33100L18lasyf_kernel_lowerIfPfEEviiPiT0_iilS3_lS3_PT_.num_agpr, 0
	.set _ZN9rocsolver6v33100L18lasyf_kernel_lowerIfPfEEviiPiT0_iilS3_lS3_PT_.numbered_sgpr, 73
	.set _ZN9rocsolver6v33100L18lasyf_kernel_lowerIfPfEEviiPiT0_iilS3_lS3_PT_.num_named_barrier, 0
	.set _ZN9rocsolver6v33100L18lasyf_kernel_lowerIfPfEEviiPiT0_iilS3_lS3_PT_.private_seg_size, 0
	.set _ZN9rocsolver6v33100L18lasyf_kernel_lowerIfPfEEviiPiT0_iilS3_lS3_PT_.uses_vcc, 1
	.set _ZN9rocsolver6v33100L18lasyf_kernel_lowerIfPfEEviiPiT0_iilS3_lS3_PT_.uses_flat_scratch, 0
	.set _ZN9rocsolver6v33100L18lasyf_kernel_lowerIfPfEEviiPiT0_iilS3_lS3_PT_.has_dyn_sized_stack, 0
	.set _ZN9rocsolver6v33100L18lasyf_kernel_lowerIfPfEEviiPiT0_iilS3_lS3_PT_.has_recursion, 0
	.set _ZN9rocsolver6v33100L18lasyf_kernel_lowerIfPfEEviiPiT0_iilS3_lS3_PT_.has_indirect_call, 0
	.section	.AMDGPU.csdata,"",@progbits
; Kernel info:
; codeLenInByte = 8560
; TotalNumSgprs: 79
; NumVgprs: 44
; NumAgprs: 0
; TotalNumVgprs: 44
; ScratchSize: 0
; MemoryBound: 0
; FloatMode: 240
; IeeeMode: 1
; LDSByteSize: 2068 bytes/workgroup (compile time only)
; SGPRBlocks: 9
; VGPRBlocks: 5
; NumSGPRsForWavesPerEU: 79
; NumVGPRsForWavesPerEU: 44
; AccumOffset: 44
; Occupancy: 8
; WaveLimiterHint : 1
; COMPUTE_PGM_RSRC2:SCRATCH_EN: 0
; COMPUTE_PGM_RSRC2:USER_SGPR: 2
; COMPUTE_PGM_RSRC2:TRAP_HANDLER: 0
; COMPUTE_PGM_RSRC2:TGID_X_EN: 1
; COMPUTE_PGM_RSRC2:TGID_Y_EN: 1
; COMPUTE_PGM_RSRC2:TGID_Z_EN: 0
; COMPUTE_PGM_RSRC2:TIDIG_COMP_CNT: 0
; COMPUTE_PGM_RSRC3_GFX90A:ACCUM_OFFSET: 10
; COMPUTE_PGM_RSRC3_GFX90A:TG_SPLIT: 0
	.section	.text._ZN9rocsolver6v33100L18lasyf_kernel_upperIdPdEEviiPiT0_iilS3_lS3_PT_,"axG",@progbits,_ZN9rocsolver6v33100L18lasyf_kernel_upperIdPdEEviiPiT0_iilS3_lS3_PT_,comdat
	.globl	_ZN9rocsolver6v33100L18lasyf_kernel_upperIdPdEEviiPiT0_iilS3_lS3_PT_ ; -- Begin function _ZN9rocsolver6v33100L18lasyf_kernel_upperIdPdEEviiPiT0_iilS3_lS3_PT_
	.p2align	8
	.type	_ZN9rocsolver6v33100L18lasyf_kernel_upperIdPdEEviiPiT0_iilS3_lS3_PT_,@function
_ZN9rocsolver6v33100L18lasyf_kernel_upperIdPdEEviiPiT0_iilS3_lS3_PT_: ; @_ZN9rocsolver6v33100L18lasyf_kernel_upperIdPdEEviiPiT0_iilS3_lS3_PT_
; %bb.0:
	s_mov_b32 s40, s3
	v_cmp_eq_u32_e64 s[10:11], 0, v0
	s_and_saveexec_b64 s[2:3], s[10:11]
; %bb.1:
	v_mov_b32_e32 v1, 0
	ds_write_b32 v1, v1 offset:3100
; %bb.2:
	s_or_b64 exec, exec, s[2:3]
	s_load_dwordx2 s[24:25], s[0:1], 0x18
	s_load_dwordx2 s[26:27], s[0:1], 0x0
	s_load_dwordx4 s[20:23], s[0:1], 0x8
	s_load_dwordx8 s[12:19], s[0:1], 0x20
	s_load_dwordx2 s[30:31], s[0:1], 0x40
	s_ashr_i32 s41, s40, 31
	s_waitcnt lgkmcnt(0)
	s_ashr_i32 s1, s24, 31
	s_mov_b32 s0, s24
	s_mul_hi_u32 s2, s12, s40
	s_mul_i32 s3, s12, s41
	s_add_i32 s2, s2, s3
	s_mul_i32 s3, s13, s40
	s_add_i32 s3, s2, s3
	s_mul_i32 s2, s12, s40
	s_lshl_b64 s[34:35], s[2:3], 3
	s_add_u32 s2, s22, s34
	s_addc_u32 s3, s23, s35
	s_lshl_b64 s[36:37], s[0:1], 3
	s_mul_i32 s0, s26, s40
	s_add_u32 s28, s2, s36
	s_mul_i32 s38, s0, s27
	s_mul_hi_u32 s0, s16, s40
	s_mul_i32 s1, s16, s41
	s_addc_u32 s29, s3, s37
	s_add_i32 s0, s0, s1
	s_mul_i32 s1, s17, s40
	s_add_i32 s1, s0, s1
	s_mul_i32 s0, s16, s40
	s_ashr_i32 s39, s38, 31
	s_lshl_b64 s[0:1], s[0:1], 2
	s_add_u32 s24, s14, s0
	s_addc_u32 s33, s15, s1
	s_add_i32 s64, s26, -1
	s_cmp_lt_i32 s64, 0
	v_lshlrev_b32_e32 v6, 3, v0
	v_add_u32_e32 v1, 1, v0
	s_mov_b32 s4, s27
	s_mov_b32 s14, s64
	s_cbranch_scc1 .LBB3_213
; %bb.3:
	s_sub_i32 s65, s27, s26
	s_lshl_b64 s[0:1], s[38:39], 3
	s_add_u32 s16, s30, s0
	s_addc_u32 s17, s31, s1
	s_add_i32 s72, s27, -1
	s_sub_i32 s66, s26, s27
	s_cmp_eq_u32 s27, s26
	s_cselect_b64 s[0:1], -1, 0
	s_add_i32 s67, s25, 1
	s_lshl_b32 s68, s26, 1
	s_add_u32 s6, s34, s36
	s_addc_u32 s7, s35, s37
	v_mov_b32_e32 v2, 0x800
	s_add_u32 s42, s22, s6
	v_mov_b32_e32 v9, 0
	v_lshl_or_b32 v26, v0, 2, v2
	s_addc_u32 s43, s23, s7
	s_ashr_i32 s7, s26, 31
	s_mov_b32 s6, s26
	v_mov_b32_e32 v7, v9
	v_add_u32_e32 v2, s27, v0
	s_movk_i32 s2, 0x80
	s_lshl_b64 s[44:45], s[6:7], 3
	s_ashr_i32 s7, s25, 31
	s_mov_b32 s6, s25
	v_lshl_add_u64 v[12:13], s[16:17], 0, v[6:7]
	v_subrev_u32_e32 v2, s26, v2
	s_mov_b32 s50, 0x66afed07
	v_cmp_gt_u32_e64 s[2:3], s2, v0
	v_cmp_gt_u32_e64 s[4:5], 64, v0
	v_lshl_add_u64 v[10:11], s[42:43], 0, v[6:7]
	s_lshl_b64 s[46:47], s[6:7], 3
	s_lshl_b32 s69, s25, 8
	v_lshl_add_u64 v[14:15], v[12:13], 0, 8
	v_add_u32_e32 v7, 1, v2
	s_lshl_b32 s70, s26, 8
	s_mov_b64 s[48:49], 0x800
	s_mov_b32 s15, 0
	s_brev_b32 s71, -2
	s_mov_b32 s51, 0x3fe47e0f
	s_xor_b64 s[52:53], s[0:1], -1
	s_mov_b32 s14, s64
	s_branch .LBB3_5
.LBB3_4:                                ;   in Loop: Header=BB3_5 Depth=1
	s_cbranch_execnz .LBB3_212
.LBB3_5:                                ; =>This Loop Header: Depth=1
                                        ;     Child Loop BB3_8 Depth 2
                                        ;     Child Loop BB3_15 Depth 2
                                        ;       Child Loop BB3_17 Depth 3
                                        ;     Child Loop BB3_21 Depth 2
                                        ;     Child Loop BB3_64 Depth 2
	;; [unrolled: 1-line block ×4, first 2 shown]
                                        ;       Child Loop BB3_76 Depth 3
                                        ;     Child Loop BB3_81 Depth 2
                                        ;     Child Loop BB3_123 Depth 2
	;; [unrolled: 1-line block ×9, first 2 shown]
	s_cmp_le_i32 s14, s66
	s_cselect_b64 s[0:1], -1, 0
	s_and_b64 s[0:1], s[52:53], s[0:1]
	s_and_b64 vcc, exec, s[0:1]
	s_cbranch_vccnz .LBB3_4
; %bb.6:                                ;   in Loop: Header=BB3_5 Depth=1
	v_cmp_ge_i32_e64 s[8:9], s14, v0
	s_and_saveexec_b64 s[0:1], s[8:9]
	s_cbranch_execz .LBB3_9
; %bb.7:                                ;   in Loop: Header=BB3_5 Depth=1
	s_mul_i32 s6, s14, s25
	s_mul_i32 s7, s72, s26
	s_waitcnt vmcnt(0)
	v_add_u32_e32 v2, s7, v0
	v_add_u32_e32 v4, s6, v0
	v_ashrrev_i32_e32 v3, 31, v2
	v_ashrrev_i32_e32 v5, 31, v4
	v_lshl_add_u64 v[2:3], v[2:3], 3, s[16:17]
	v_lshl_add_u64 v[4:5], v[4:5], 3, s[42:43]
	s_mov_b64 s[6:7], 0
	v_mov_b32_e32 v8, v0
.LBB3_8:                                ;   Parent Loop BB3_5 Depth=1
                                        ; =>  This Inner Loop Header: Depth=2
	global_load_dwordx2 v[16:17], v[4:5], off
	v_add_u32_e32 v8, 0x100, v8
	v_cmp_lt_i32_e32 vcc, s14, v8
	v_lshl_add_u64 v[4:5], v[4:5], 0, s[48:49]
	s_or_b64 s[6:7], vcc, s[6:7]
	s_waitcnt vmcnt(0)
	global_store_dwordx2 v[2:3], v[16:17], off
	v_lshl_add_u64 v[2:3], v[2:3], 0, s[48:49]
	s_andn2_b64 exec, exec, s[6:7]
	s_cbranch_execnz .LBB3_8
.LBB3_9:                                ;   in Loop: Header=BB3_5 Depth=1
	s_or_b64 exec, exec, s[0:1]
	s_cmp_ge_i32 s14, s64
	s_cselect_b64 s[56:57], -1, 0
	s_cmp_lt_i32 s14, s64
	s_mov_b64 s[0:1], -1
	s_barrier
                                        ; implicit-def: $sgpr54
	s_cbranch_scc1 .LBB3_11
; %bb.10:                               ;   in Loop: Header=BB3_5 Depth=1
	s_mul_i32 s54, s72, s26
	s_ashr_i32 s55, s54, 31
	s_mov_b64 s[0:1], 0
.LBB3_11:                               ;   in Loop: Header=BB3_5 Depth=1
	s_andn2_b64 vcc, exec, s[0:1]
	s_cbranch_vccnz .LBB3_19
; %bb.12:                               ;   in Loop: Header=BB3_5 Depth=1
	s_mul_i32 s54, s72, s26
	s_ashr_i32 s55, s54, 31
	s_and_saveexec_b64 s[0:1], s[8:9]
	s_cbranch_execz .LBB3_18
; %bb.13:                               ;   in Loop: Header=BB3_5 Depth=1
	s_add_i32 s6, s14, 1
	s_not_b32 s7, s14
	s_mul_i32 s58, s6, s25
	s_add_i32 s73, s26, s7
	s_ashr_i32 s59, s58, 31
	s_lshl_b64 s[6:7], s[14:15], 3
	s_add_u32 s12, s16, s6
	s_addc_u32 s13, s17, s7
	s_add_i32 s6, s72, 1
	s_mul_i32 s6, s6, s26
	s_ashr_i32 s7, s6, 31
	s_lshl_b64 s[6:7], s[6:7], 3
	s_add_u32 s6, s12, s6
	s_addc_u32 s7, s13, s7
	s_lshl_b64 s[12:13], s[54:55], 3
	s_add_u32 s12, s16, s12
	s_addc_u32 s13, s17, s13
	s_cmp_gt_i32 s73, 0
	s_waitcnt vmcnt(0)
	v_lshl_add_u64 v[2:3], s[58:59], 3, v[10:11]
	s_mov_b64 s[58:59], 0
	s_cselect_b64 s[60:61], -1, 0
	v_mov_b32_e32 v8, v0
	s_branch .LBB3_15
.LBB3_14:                               ;   in Loop: Header=BB3_15 Depth=2
	v_lshl_add_u64 v[16:17], v[8:9], 3, s[12:13]
	global_load_dwordx2 v[18:19], v[16:17], off
	v_add_u32_e32 v8, 0x100, v8
	v_cmp_lt_i32_e32 vcc, s14, v8
	s_or_b64 s[58:59], vcc, s[58:59]
	v_lshl_add_u64 v[2:3], v[2:3], 0, s[48:49]
	s_waitcnt vmcnt(0)
	v_add_f64 v[4:5], v[18:19], -v[4:5]
	global_store_dwordx2 v[16:17], v[4:5], off
	s_andn2_b64 exec, exec, s[58:59]
	s_cbranch_execz .LBB3_18
.LBB3_15:                               ;   Parent Loop BB3_5 Depth=1
                                        ; =>  This Loop Header: Depth=2
                                        ;       Child Loop BB3_17 Depth 3
	v_mov_b64_e32 v[4:5], 0
	s_andn2_b64 vcc, exec, s[60:61]
	s_cbranch_vccnz .LBB3_14
; %bb.16:                               ;   in Loop: Header=BB3_15 Depth=2
	v_mov_b64_e32 v[16:17], v[2:3]
	s_mov_b64 s[62:63], s[6:7]
	s_mov_b32 s74, s73
.LBB3_17:                               ;   Parent Loop BB3_5 Depth=1
                                        ;     Parent Loop BB3_15 Depth=2
                                        ; =>    This Inner Loop Header: Depth=3
	global_load_dwordx2 v[18:19], v[16:17], off
	global_load_dwordx2 v[20:21], v9, s[62:63]
	s_add_i32 s74, s74, -1
	s_add_u32 s62, s62, s44
	s_addc_u32 s63, s63, s45
	v_lshl_add_u64 v[16:17], v[16:17], 0, s[46:47]
	s_cmp_eq_u32 s74, 0
	s_waitcnt vmcnt(0)
	v_fmac_f64_e32 v[4:5], v[18:19], v[20:21]
	s_cbranch_scc0 .LBB3_17
	s_branch .LBB3_14
.LBB3_18:                               ;   in Loop: Header=BB3_5 Depth=1
	s_or_b64 exec, exec, s[0:1]
	s_barrier
.LBB3_19:                               ;   in Loop: Header=BB3_5 Depth=1
	v_cmp_gt_i32_e64 s[6:7], s14, v0
	s_waitcnt vmcnt(0)
	v_mov_b64_e32 v[2:3], 0
	v_bfrev_b32_e32 v8, -2
	s_and_saveexec_b64 s[12:13], s[6:7]
	s_cbranch_execz .LBB3_23
; %bb.20:                               ;   in Loop: Header=BB3_5 Depth=1
	v_lshl_add_u64 v[4:5], s[54:55], 3, v[12:13]
	v_mov_b64_e32 v[2:3], 0
	v_bfrev_b32_e32 v8, -2
	s_mov_b64 s[58:59], 0
	v_mov_b32_e32 v16, v0
.LBB3_21:                               ;   Parent Loop BB3_5 Depth=1
                                        ; =>  This Inner Loop Header: Depth=2
	global_load_dwordx2 v[18:19], v[4:5], off
	v_cmp_eq_u32_e32 vcc, s71, v8
	v_add_u32_e32 v17, 1, v16
	v_add_u32_e32 v16, 0x100, v16
	v_cmp_le_i32_e64 s[0:1], s14, v16
	v_lshl_add_u64 v[4:5], v[4:5], 0, s[48:49]
	s_waitcnt vmcnt(0)
	v_cmp_lt_f64_e64 s[60:61], v[2:3], |v[18:19]|
	v_and_b32_e32 v20, 0x7fffffff, v19
	s_or_b64 vcc, s[60:61], vcc
	v_cndmask_b32_e32 v3, v3, v20, vcc
	v_cndmask_b32_e32 v2, v2, v18, vcc
	s_or_b64 s[58:59], s[0:1], s[58:59]
	v_cndmask_b32_e32 v8, v8, v17, vcc
	s_andn2_b64 exec, exec, s[58:59]
	s_cbranch_execnz .LBB3_21
; %bb.22:                               ;   in Loop: Header=BB3_5 Depth=1
	s_or_b64 exec, exec, s[58:59]
.LBB3_23:                               ;   in Loop: Header=BB3_5 Depth=1
	s_or_b64 exec, exec, s[12:13]
	s_cmp_lt_i32 s14, 2
	ds_write_b64 v6, v[2:3]
	ds_write_b32 v26, v8
	s_waitcnt lgkmcnt(0)
	s_barrier
	s_cbranch_scc1 .LBB3_58
; %bb.24:                               ;   in Loop: Header=BB3_5 Depth=1
	s_and_saveexec_b64 s[12:13], s[2:3]
	s_cbranch_execz .LBB3_30
; %bb.25:                               ;   in Loop: Header=BB3_5 Depth=1
	ds_read_b64 v[4:5], v6 offset:1024
	ds_read_b32 v16, v26 offset:512
	s_waitcnt lgkmcnt(1)
	v_cmp_lt_f64_e64 s[58:59], v[2:3], v[4:5]
	v_cmp_nlt_f64_e32 vcc, v[2:3], v[4:5]
	s_and_saveexec_b64 s[60:61], vcc
	s_cbranch_execz .LBB3_27
; %bb.26:                               ;   in Loop: Header=BB3_5 Depth=1
	v_cmp_eq_f64_e32 vcc, v[2:3], v[4:5]
	s_waitcnt lgkmcnt(0)
	v_cmp_gt_i32_e64 s[0:1], v8, v16
	s_and_b64 s[0:1], vcc, s[0:1]
	s_andn2_b64 s[58:59], s[58:59], exec
	s_and_b64 s[0:1], s[0:1], exec
	s_or_b64 s[58:59], s[58:59], s[0:1]
.LBB3_27:                               ;   in Loop: Header=BB3_5 Depth=1
	s_or_b64 exec, exec, s[60:61]
	s_and_saveexec_b64 s[0:1], s[58:59]
	s_cbranch_execz .LBB3_29
; %bb.28:                               ;   in Loop: Header=BB3_5 Depth=1
	s_waitcnt lgkmcnt(0)
	v_mov_b32_e32 v8, v16
	v_mov_b64_e32 v[2:3], v[4:5]
	ds_write_b64 v6, v[4:5]
	ds_write_b32 v26, v16
.LBB3_29:                               ;   in Loop: Header=BB3_5 Depth=1
	s_or_b64 exec, exec, s[0:1]
.LBB3_30:                               ;   in Loop: Header=BB3_5 Depth=1
	s_or_b64 exec, exec, s[12:13]
	s_waitcnt lgkmcnt(0)
	s_barrier
	s_and_saveexec_b64 s[58:59], s[4:5]
	s_cbranch_execz .LBB3_57
; %bb.31:                               ;   in Loop: Header=BB3_5 Depth=1
	ds_read_b64 v[4:5], v6 offset:512
	ds_read_b32 v16, v26 offset:256
	s_waitcnt lgkmcnt(1)
	v_cmp_lt_f64_e64 s[12:13], v[2:3], v[4:5]
	v_cmp_nlt_f64_e32 vcc, v[2:3], v[4:5]
	s_and_saveexec_b64 s[60:61], vcc
	s_cbranch_execz .LBB3_33
; %bb.32:                               ;   in Loop: Header=BB3_5 Depth=1
	v_cmp_eq_f64_e32 vcc, v[2:3], v[4:5]
	s_waitcnt lgkmcnt(0)
	v_cmp_gt_i32_e64 s[0:1], v8, v16
	s_and_b64 s[0:1], vcc, s[0:1]
	s_andn2_b64 s[12:13], s[12:13], exec
	s_and_b64 s[0:1], s[0:1], exec
	s_or_b64 s[12:13], s[12:13], s[0:1]
.LBB3_33:                               ;   in Loop: Header=BB3_5 Depth=1
	s_or_b64 exec, exec, s[60:61]
	s_and_saveexec_b64 s[0:1], s[12:13]
	s_cbranch_execz .LBB3_35
; %bb.34:                               ;   in Loop: Header=BB3_5 Depth=1
	v_mov_b64_e32 v[2:3], v[4:5]
	s_waitcnt lgkmcnt(0)
	v_mov_b32_e32 v8, v16
	ds_write_b64 v6, v[4:5]
	ds_write_b32 v26, v16
.LBB3_35:                               ;   in Loop: Header=BB3_5 Depth=1
	s_or_b64 exec, exec, s[0:1]
	ds_read_b64 v[4:5], v6 offset:256
	s_waitcnt lgkmcnt(1)
	ds_read_b32 v16, v26 offset:128
	s_waitcnt lgkmcnt(1)
	v_cmp_lt_f64_e64 s[12:13], v[2:3], v[4:5]
	v_cmp_nlt_f64_e32 vcc, v[2:3], v[4:5]
	s_and_saveexec_b64 s[60:61], vcc
	s_cbranch_execz .LBB3_37
; %bb.36:                               ;   in Loop: Header=BB3_5 Depth=1
	v_cmp_eq_f64_e32 vcc, v[2:3], v[4:5]
	s_waitcnt lgkmcnt(0)
	v_cmp_gt_i32_e64 s[0:1], v8, v16
	s_and_b64 s[0:1], vcc, s[0:1]
	s_andn2_b64 s[12:13], s[12:13], exec
	s_and_b64 s[0:1], s[0:1], exec
	s_or_b64 s[12:13], s[12:13], s[0:1]
.LBB3_37:                               ;   in Loop: Header=BB3_5 Depth=1
	s_or_b64 exec, exec, s[60:61]
	s_and_saveexec_b64 s[0:1], s[12:13]
	s_cbranch_execz .LBB3_39
; %bb.38:                               ;   in Loop: Header=BB3_5 Depth=1
	v_mov_b64_e32 v[2:3], v[4:5]
	s_waitcnt lgkmcnt(0)
	v_mov_b32_e32 v8, v16
	ds_write_b64 v6, v[4:5]
	ds_write_b32 v26, v16
.LBB3_39:                               ;   in Loop: Header=BB3_5 Depth=1
	s_or_b64 exec, exec, s[0:1]
	ds_read_b64 v[4:5], v6 offset:128
	s_waitcnt lgkmcnt(1)
	;; [unrolled: 28-line block ×6, first 2 shown]
	ds_read_b32 v16, v26 offset:4
	s_waitcnt lgkmcnt(1)
	v_cmp_eq_f64_e64 s[0:1], v[2:3], v[4:5]
	s_waitcnt lgkmcnt(0)
	v_cmp_gt_i32_e64 s[12:13], v8, v16
	v_cmp_lt_f64_e32 vcc, v[2:3], v[4:5]
	s_and_b64 s[0:1], s[0:1], s[12:13]
	s_or_b64 s[0:1], vcc, s[0:1]
	s_and_b64 exec, exec, s[0:1]
	s_cbranch_execz .LBB3_57
; %bb.56:                               ;   in Loop: Header=BB3_5 Depth=1
	ds_write_b64 v6, v[4:5]
	ds_write_b32 v26, v16
.LBB3_57:                               ;   in Loop: Header=BB3_5 Depth=1
	s_or_b64 exec, exec, s[58:59]
.LBB3_58:                               ;   in Loop: Header=BB3_5 Depth=1
	s_and_saveexec_b64 s[0:1], s[10:11]
	s_cbranch_execz .LBB3_60
; %bb.59:                               ;   in Loop: Header=BB3_5 Depth=1
	s_add_i32 s12, s54, s14
	s_ashr_i32 s13, s12, 31
	s_lshl_b64 s[12:13], s[12:13], 3
	s_add_u32 s12, s16, s12
	s_addc_u32 s13, s17, s13
	global_load_dwordx2 v[2:3], v9, s[12:13]
	ds_read_b32 v8, v9 offset:2048
	ds_read_b64 v[4:5], v9
	s_waitcnt lgkmcnt(1)
	v_add_u32_e32 v8, -1, v8
	ds_write_b32 v9, v8 offset:3096
	s_waitcnt vmcnt(0)
	v_and_b32_e32 v3, 0x7fffffff, v3
	s_waitcnt lgkmcnt(1)
	ds_write_b128 v9, v[2:5] offset:3072
.LBB3_60:                               ;   in Loop: Header=BB3_5 Depth=1
	s_or_b64 exec, exec, s[0:1]
	s_waitcnt lgkmcnt(0)
	s_barrier
	ds_read_b128 v[2:5], v9 offset:3072
	s_waitcnt lgkmcnt(0)
	v_cmp_lt_f64_e32 vcc, v[2:3], v[4:5]
	s_nop 1
	v_cndmask_b32_e32 v17, v3, v5, vcc
	v_cndmask_b32_e32 v16, v2, v4, vcc
	v_cmp_neq_f64_e32 vcc, 0, v[16:17]
	s_cbranch_vccz .LBB3_77
; %bb.61:                               ;   in Loop: Header=BB3_5 Depth=1
	v_mul_f64 v[4:5], v[4:5], s[50:51]
	v_cmp_ge_f64_e32 vcc, v[2:3], v[4:5]
	s_cbranch_vccnz .LBB3_169
; %bb.62:                               ;   in Loop: Header=BB3_5 Depth=1
	ds_read_b32 v2, v9 offset:3096
	s_waitcnt lgkmcnt(0)
	v_readfirstlane_b32 s55, v2
	v_cmp_le_i32_e32 vcc, v0, v2
	s_and_saveexec_b64 s[0:1], vcc
	s_cbranch_execz .LBB3_65
; %bb.63:                               ;   in Loop: Header=BB3_5 Depth=1
	s_add_i32 s13, s72, -1
	s_mul_i32 s12, s55, s25
	s_mul_i32 s13, s13, s26
	v_add_u32_e32 v2, s13, v0
	v_add_u32_e32 v4, s12, v0
	v_ashrrev_i32_e32 v3, 31, v2
	v_ashrrev_i32_e32 v5, 31, v4
	v_lshl_add_u64 v[2:3], v[2:3], 3, s[16:17]
	v_lshl_add_u64 v[4:5], v[4:5], 3, s[42:43]
	s_mov_b64 s[12:13], 0
	v_mov_b32_e32 v8, v0
.LBB3_64:                               ;   Parent Loop BB3_5 Depth=1
                                        ; =>  This Inner Loop Header: Depth=2
	global_load_dwordx2 v[16:17], v[4:5], off
	v_add_u32_e32 v8, 0x100, v8
	v_cmp_lt_i32_e32 vcc, s55, v8
	v_lshl_add_u64 v[4:5], v[4:5], 0, s[48:49]
	s_or_b64 s[12:13], vcc, s[12:13]
	s_waitcnt vmcnt(0)
	global_store_dwordx2 v[2:3], v[16:17], off
	v_lshl_add_u64 v[2:3], v[2:3], 0, s[48:49]
	s_andn2_b64 exec, exec, s[12:13]
	s_cbranch_execnz .LBB3_64
.LBB3_65:                               ;   in Loop: Header=BB3_5 Depth=1
	s_or_b64 exec, exec, s[0:1]
	s_sub_i32 s58, s14, s55
	v_cmp_gt_i32_e32 vcc, s58, v0
	s_and_saveexec_b64 s[0:1], vcc
	s_cbranch_execz .LBB3_68
; %bb.66:                               ;   in Loop: Header=BB3_5 Depth=1
	s_add_i32 s12, s72, -1
	s_mul_i32 s12, s12, s26
	v_add_u32_e32 v2, s55, v1
	s_add_i32 s59, s55, s12
	v_mul_lo_u32 v2, s25, v2
	s_add_i32 s59, s59, 1
	v_add_u32_e32 v2, s55, v2
	s_mov_b64 s[12:13], 0
	v_mov_b32_e32 v4, v0
.LBB3_67:                               ;   Parent Loop BB3_5 Depth=1
                                        ; =>  This Inner Loop Header: Depth=2
	v_ashrrev_i32_e32 v3, 31, v2
	v_lshl_add_u64 v[16:17], v[2:3], 3, s[28:29]
	global_load_dwordx2 v[16:17], v[16:17], off
	v_add_u32_e32 v18, s59, v4
	v_add_u32_e32 v4, 0x100, v4
	v_ashrrev_i32_e32 v19, 31, v18
	v_cmp_le_i32_e32 vcc, s58, v4
	v_add_u32_e32 v2, s69, v2
	v_lshl_add_u64 v[18:19], v[18:19], 3, s[16:17]
	s_or_b64 s[12:13], vcc, s[12:13]
	s_waitcnt vmcnt(0)
	global_store_dwordx2 v[18:19], v[16:17], off
	s_andn2_b64 exec, exec, s[12:13]
	s_cbranch_execnz .LBB3_67
.LBB3_68:                               ;   in Loop: Header=BB3_5 Depth=1
	s_or_b64 exec, exec, s[0:1]
	s_andn2_b64 vcc, exec, s[56:57]
	s_mov_b64 s[0:1], -1
	s_barrier
                                        ; implicit-def: $sgpr56
	s_cbranch_vccnz .LBB3_70
; %bb.69:                               ;   in Loop: Header=BB3_5 Depth=1
	s_add_i32 s0, s72, -1
	s_mul_i32 s56, s0, s26
	s_ashr_i32 s57, s56, 31
	s_mov_b64 s[0:1], 0
.LBB3_70:                               ;   in Loop: Header=BB3_5 Depth=1
	s_andn2_b64 vcc, exec, s[0:1]
	s_cbranch_vccnz .LBB3_79
; %bb.71:                               ;   in Loop: Header=BB3_5 Depth=1
	s_add_i32 s0, s72, 1
	s_mul_i32 s12, s0, s26
	s_sub_i32 s56, s12, s68
	s_ashr_i32 s57, s56, 31
	s_and_saveexec_b64 s[0:1], s[8:9]
	s_cbranch_execz .LBB3_78
; %bb.72:                               ;   in Loop: Header=BB3_5 Depth=1
	ds_read_b32 v2, v9 offset:3096
	s_add_i32 s13, s14, 1
	s_mul_i32 s60, s13, s25
	s_ashr_i32 s13, s12, 31
	s_not_b32 s55, s14
	s_waitcnt lgkmcnt(0)
	v_ashrrev_i32_e32 v3, 31, v2
	v_lshlrev_b64 v[2:3], 3, v[2:3]
	v_lshl_add_u64 v[2:3], s[16:17], 0, v[2:3]
	s_lshl_b64 s[12:13], s[12:13], 3
	s_add_i32 s55, s26, s55
	s_ashr_i32 s61, s60, 31
	v_lshl_add_u64 v[2:3], v[2:3], 0, s[12:13]
	s_lshl_b64 s[12:13], s[56:57], 3
	s_add_u32 s12, s16, s12
	s_addc_u32 s13, s17, s13
	s_cmp_gt_i32 s55, 0
	s_cselect_b64 s[58:59], -1, 0
	v_lshl_add_u64 v[4:5], s[60:61], 3, v[10:11]
	s_mov_b64 s[60:61], 0
	v_mov_b32_e32 v8, v0
	s_branch .LBB3_74
.LBB3_73:                               ;   in Loop: Header=BB3_74 Depth=2
	v_lshl_add_u64 v[18:19], v[8:9], 3, s[12:13]
	global_load_dwordx2 v[20:21], v[18:19], off
	v_add_u32_e32 v8, 0x100, v8
	v_cmp_lt_i32_e32 vcc, s14, v8
	s_or_b64 s[60:61], vcc, s[60:61]
	v_lshl_add_u64 v[4:5], v[4:5], 0, s[48:49]
	s_waitcnt vmcnt(0)
	v_add_f64 v[16:17], v[20:21], -v[16:17]
	global_store_dwordx2 v[18:19], v[16:17], off
	s_andn2_b64 exec, exec, s[60:61]
	s_cbranch_execz .LBB3_78
.LBB3_74:                               ;   Parent Loop BB3_5 Depth=1
                                        ; =>  This Loop Header: Depth=2
                                        ;       Child Loop BB3_76 Depth 3
	v_mov_b64_e32 v[16:17], 0
	s_andn2_b64 vcc, exec, s[58:59]
	s_cbranch_vccnz .LBB3_73
; %bb.75:                               ;   in Loop: Header=BB3_74 Depth=2
	v_mov_b64_e32 v[18:19], v[4:5]
	v_mov_b64_e32 v[20:21], v[2:3]
	s_mov_b32 s62, s55
.LBB3_76:                               ;   Parent Loop BB3_5 Depth=1
                                        ;     Parent Loop BB3_74 Depth=2
                                        ; =>    This Inner Loop Header: Depth=3
	global_load_dwordx2 v[22:23], v[18:19], off
	global_load_dwordx2 v[24:25], v[20:21], off
	s_add_i32 s62, s62, -1
	v_lshl_add_u64 v[20:21], v[20:21], 0, s[44:45]
	v_lshl_add_u64 v[18:19], v[18:19], 0, s[46:47]
	s_cmp_eq_u32 s62, 0
	s_waitcnt vmcnt(0)
	v_fmac_f64_e32 v[16:17], v[22:23], v[24:25]
	s_cbranch_scc0 .LBB3_76
	s_branch .LBB3_73
.LBB3_77:                               ;   in Loop: Header=BB3_5 Depth=1
	s_mov_b64 s[0:1], -1
                                        ; implicit-def: $sgpr55
                                        ; implicit-def: $sgpr12
                                        ; implicit-def: $sgpr8_sgpr9
	s_branch .LBB3_201
.LBB3_78:                               ;   in Loop: Header=BB3_5 Depth=1
	s_or_b64 exec, exec, s[0:1]
	s_barrier
.LBB3_79:                               ;   in Loop: Header=BB3_5 Depth=1
	ds_read_b32 v4, v9 offset:3096
	v_mov_b64_e32 v[2:3], 0
	v_bfrev_b32_e32 v8, -2
	s_waitcnt lgkmcnt(0)
	v_sub_u32_e32 v16, s14, v4
	v_cmp_lt_i32_e32 vcc, v0, v16
	s_and_saveexec_b64 s[12:13], vcc
	s_cbranch_execz .LBB3_83
; %bb.80:                               ;   in Loop: Header=BB3_5 Depth=1
	v_ashrrev_i32_e32 v5, 31, v4
	s_lshl_b64 s[0:1], s[56:57], 3
	v_lshlrev_b64 v[2:3], 3, v[4:5]
	v_lshl_add_u64 v[2:3], s[0:1], 0, v[2:3]
	v_lshl_add_u64 v[4:5], v[14:15], 0, v[2:3]
	v_mov_b64_e32 v[2:3], 0
	v_bfrev_b32_e32 v8, -2
	s_mov_b64 s[58:59], 0
	v_mov_b32_e32 v17, v0
.LBB3_81:                               ;   Parent Loop BB3_5 Depth=1
                                        ; =>  This Inner Loop Header: Depth=2
	global_load_dwordx2 v[18:19], v[4:5], off
	v_cmp_eq_u32_e32 vcc, s71, v8
	v_add_u32_e32 v20, 1, v17
	v_add_u32_e32 v17, 0x100, v17
	v_cmp_ge_i32_e64 s[0:1], v17, v16
	v_lshl_add_u64 v[4:5], v[4:5], 0, s[48:49]
	s_waitcnt vmcnt(0)
	v_cmp_lt_f64_e64 s[60:61], v[2:3], |v[18:19]|
	v_and_b32_e32 v21, 0x7fffffff, v19
	s_or_b64 vcc, s[60:61], vcc
	v_cndmask_b32_e32 v3, v3, v21, vcc
	v_cndmask_b32_e32 v2, v2, v18, vcc
	s_or_b64 s[58:59], s[0:1], s[58:59]
	v_cndmask_b32_e32 v8, v8, v20, vcc
	s_andn2_b64 exec, exec, s[58:59]
	s_cbranch_execnz .LBB3_81
; %bb.82:                               ;   in Loop: Header=BB3_5 Depth=1
	s_or_b64 exec, exec, s[58:59]
.LBB3_83:                               ;   in Loop: Header=BB3_5 Depth=1
	s_or_b64 exec, exec, s[12:13]
	v_cmp_gt_i32_e32 vcc, 2, v16
	s_and_b64 vcc, exec, vcc
	ds_write_b64 v6, v[2:3]
	ds_write_b32 v26, v8
	s_waitcnt lgkmcnt(0)
	s_barrier
	s_cbranch_vccnz .LBB3_118
; %bb.84:                               ;   in Loop: Header=BB3_5 Depth=1
	s_and_saveexec_b64 s[12:13], s[2:3]
	s_cbranch_execz .LBB3_90
; %bb.85:                               ;   in Loop: Header=BB3_5 Depth=1
	ds_read_b64 v[4:5], v6 offset:1024
	ds_read_b32 v16, v26 offset:512
	s_waitcnt lgkmcnt(1)
	v_cmp_lt_f64_e64 s[58:59], v[2:3], v[4:5]
	v_cmp_nlt_f64_e32 vcc, v[2:3], v[4:5]
	s_and_saveexec_b64 s[60:61], vcc
	s_cbranch_execz .LBB3_87
; %bb.86:                               ;   in Loop: Header=BB3_5 Depth=1
	v_cmp_eq_f64_e32 vcc, v[2:3], v[4:5]
	s_waitcnt lgkmcnt(0)
	v_cmp_gt_i32_e64 s[0:1], v8, v16
	s_and_b64 s[0:1], vcc, s[0:1]
	s_andn2_b64 s[58:59], s[58:59], exec
	s_and_b64 s[0:1], s[0:1], exec
	s_or_b64 s[58:59], s[58:59], s[0:1]
.LBB3_87:                               ;   in Loop: Header=BB3_5 Depth=1
	s_or_b64 exec, exec, s[60:61]
	s_and_saveexec_b64 s[0:1], s[58:59]
	s_cbranch_execz .LBB3_89
; %bb.88:                               ;   in Loop: Header=BB3_5 Depth=1
	s_waitcnt lgkmcnt(0)
	v_mov_b32_e32 v8, v16
	v_mov_b64_e32 v[2:3], v[4:5]
	ds_write_b64 v6, v[4:5]
	ds_write_b32 v26, v16
.LBB3_89:                               ;   in Loop: Header=BB3_5 Depth=1
	s_or_b64 exec, exec, s[0:1]
.LBB3_90:                               ;   in Loop: Header=BB3_5 Depth=1
	s_or_b64 exec, exec, s[12:13]
	s_waitcnt lgkmcnt(0)
	s_barrier
	s_and_saveexec_b64 s[58:59], s[4:5]
	s_cbranch_execz .LBB3_117
; %bb.91:                               ;   in Loop: Header=BB3_5 Depth=1
	ds_read_b64 v[4:5], v6 offset:512
	ds_read_b32 v16, v26 offset:256
	s_waitcnt lgkmcnt(1)
	v_cmp_lt_f64_e64 s[12:13], v[2:3], v[4:5]
	v_cmp_nlt_f64_e32 vcc, v[2:3], v[4:5]
	s_and_saveexec_b64 s[60:61], vcc
	s_cbranch_execz .LBB3_93
; %bb.92:                               ;   in Loop: Header=BB3_5 Depth=1
	v_cmp_eq_f64_e32 vcc, v[2:3], v[4:5]
	s_waitcnt lgkmcnt(0)
	v_cmp_gt_i32_e64 s[0:1], v8, v16
	s_and_b64 s[0:1], vcc, s[0:1]
	s_andn2_b64 s[12:13], s[12:13], exec
	s_and_b64 s[0:1], s[0:1], exec
	s_or_b64 s[12:13], s[12:13], s[0:1]
.LBB3_93:                               ;   in Loop: Header=BB3_5 Depth=1
	s_or_b64 exec, exec, s[60:61]
	s_and_saveexec_b64 s[0:1], s[12:13]
	s_cbranch_execz .LBB3_95
; %bb.94:                               ;   in Loop: Header=BB3_5 Depth=1
	v_mov_b64_e32 v[2:3], v[4:5]
	s_waitcnt lgkmcnt(0)
	v_mov_b32_e32 v8, v16
	ds_write_b64 v6, v[4:5]
	ds_write_b32 v26, v16
.LBB3_95:                               ;   in Loop: Header=BB3_5 Depth=1
	s_or_b64 exec, exec, s[0:1]
	ds_read_b64 v[4:5], v6 offset:256
	s_waitcnt lgkmcnt(1)
	ds_read_b32 v16, v26 offset:128
	s_waitcnt lgkmcnt(1)
	v_cmp_lt_f64_e64 s[12:13], v[2:3], v[4:5]
	v_cmp_nlt_f64_e32 vcc, v[2:3], v[4:5]
	s_and_saveexec_b64 s[60:61], vcc
	s_cbranch_execz .LBB3_97
; %bb.96:                               ;   in Loop: Header=BB3_5 Depth=1
	v_cmp_eq_f64_e32 vcc, v[2:3], v[4:5]
	s_waitcnt lgkmcnt(0)
	v_cmp_gt_i32_e64 s[0:1], v8, v16
	s_and_b64 s[0:1], vcc, s[0:1]
	s_andn2_b64 s[12:13], s[12:13], exec
	s_and_b64 s[0:1], s[0:1], exec
	s_or_b64 s[12:13], s[12:13], s[0:1]
.LBB3_97:                               ;   in Loop: Header=BB3_5 Depth=1
	s_or_b64 exec, exec, s[60:61]
	s_and_saveexec_b64 s[0:1], s[12:13]
	s_cbranch_execz .LBB3_99
; %bb.98:                               ;   in Loop: Header=BB3_5 Depth=1
	v_mov_b64_e32 v[2:3], v[4:5]
	s_waitcnt lgkmcnt(0)
	v_mov_b32_e32 v8, v16
	ds_write_b64 v6, v[4:5]
	ds_write_b32 v26, v16
.LBB3_99:                               ;   in Loop: Header=BB3_5 Depth=1
	s_or_b64 exec, exec, s[0:1]
	ds_read_b64 v[4:5], v6 offset:128
	s_waitcnt lgkmcnt(1)
	ds_read_b32 v16, v26 offset:64
	s_waitcnt lgkmcnt(1)
	v_cmp_lt_f64_e64 s[12:13], v[2:3], v[4:5]
	v_cmp_nlt_f64_e32 vcc, v[2:3], v[4:5]
	s_and_saveexec_b64 s[60:61], vcc
	s_cbranch_execz .LBB3_101
; %bb.100:                              ;   in Loop: Header=BB3_5 Depth=1
	v_cmp_eq_f64_e32 vcc, v[2:3], v[4:5]
	s_waitcnt lgkmcnt(0)
	v_cmp_gt_i32_e64 s[0:1], v8, v16
	s_and_b64 s[0:1], vcc, s[0:1]
	s_andn2_b64 s[12:13], s[12:13], exec
	s_and_b64 s[0:1], s[0:1], exec
	s_or_b64 s[12:13], s[12:13], s[0:1]
.LBB3_101:                              ;   in Loop: Header=BB3_5 Depth=1
	s_or_b64 exec, exec, s[60:61]
	s_and_saveexec_b64 s[0:1], s[12:13]
	s_cbranch_execz .LBB3_103
; %bb.102:                              ;   in Loop: Header=BB3_5 Depth=1
	v_mov_b64_e32 v[2:3], v[4:5]
	s_waitcnt lgkmcnt(0)
	v_mov_b32_e32 v8, v16
	ds_write_b64 v6, v[4:5]
	ds_write_b32 v26, v16
.LBB3_103:                              ;   in Loop: Header=BB3_5 Depth=1
	s_or_b64 exec, exec, s[0:1]
	ds_read_b64 v[4:5], v6 offset:64
	s_waitcnt lgkmcnt(1)
	ds_read_b32 v16, v26 offset:32
	s_waitcnt lgkmcnt(1)
	v_cmp_lt_f64_e64 s[12:13], v[2:3], v[4:5]
	v_cmp_nlt_f64_e32 vcc, v[2:3], v[4:5]
	s_and_saveexec_b64 s[60:61], vcc
	s_cbranch_execz .LBB3_105
; %bb.104:                              ;   in Loop: Header=BB3_5 Depth=1
	v_cmp_eq_f64_e32 vcc, v[2:3], v[4:5]
	s_waitcnt lgkmcnt(0)
	v_cmp_gt_i32_e64 s[0:1], v8, v16
	s_and_b64 s[0:1], vcc, s[0:1]
	s_andn2_b64 s[12:13], s[12:13], exec
	s_and_b64 s[0:1], s[0:1], exec
	s_or_b64 s[12:13], s[12:13], s[0:1]
.LBB3_105:                              ;   in Loop: Header=BB3_5 Depth=1
	s_or_b64 exec, exec, s[60:61]
	s_and_saveexec_b64 s[0:1], s[12:13]
	s_cbranch_execz .LBB3_107
; %bb.106:                              ;   in Loop: Header=BB3_5 Depth=1
	v_mov_b64_e32 v[2:3], v[4:5]
	s_waitcnt lgkmcnt(0)
	v_mov_b32_e32 v8, v16
	ds_write_b64 v6, v[4:5]
	ds_write_b32 v26, v16
.LBB3_107:                              ;   in Loop: Header=BB3_5 Depth=1
	;; [unrolled: 28-line block ×4, first 2 shown]
	s_or_b64 exec, exec, s[0:1]
	ds_read_b64 v[4:5], v6 offset:8
	s_waitcnt lgkmcnt(1)
	ds_read_b32 v16, v26 offset:4
	s_waitcnt lgkmcnt(1)
	v_cmp_eq_f64_e64 s[0:1], v[2:3], v[4:5]
	s_waitcnt lgkmcnt(0)
	v_cmp_gt_i32_e64 s[12:13], v8, v16
	v_cmp_lt_f64_e32 vcc, v[2:3], v[4:5]
	s_and_b64 s[0:1], s[0:1], s[12:13]
	s_or_b64 s[0:1], vcc, s[0:1]
	s_and_b64 exec, exec, s[0:1]
	s_cbranch_execz .LBB3_117
; %bb.116:                              ;   in Loop: Header=BB3_5 Depth=1
	ds_write_b64 v6, v[4:5]
	ds_write_b32 v26, v16
.LBB3_117:                              ;   in Loop: Header=BB3_5 Depth=1
	s_or_b64 exec, exec, s[58:59]
.LBB3_118:                              ;   in Loop: Header=BB3_5 Depth=1
	s_and_saveexec_b64 s[0:1], s[10:11]
	s_cbranch_execz .LBB3_120
; %bb.119:                              ;   in Loop: Header=BB3_5 Depth=1
	ds_read_b64 v[2:3], v9
	s_waitcnt lgkmcnt(0)
	ds_write_b64 v9, v[2:3] offset:3088
.LBB3_120:                              ;   in Loop: Header=BB3_5 Depth=1
	s_or_b64 exec, exec, s[0:1]
	ds_read_b32 v16, v9 offset:3096
	s_waitcnt lgkmcnt(0)
	v_cmp_gt_i32_e32 vcc, 1, v16
	s_cbranch_vccnz .LBB3_163
; %bb.121:                              ;   in Loop: Header=BB3_5 Depth=1
	v_cmp_lt_i32_e32 vcc, v0, v16
	v_mov_b64_e32 v[2:3], 0
	v_bfrev_b32_e32 v8, -2
	s_and_saveexec_b64 s[12:13], vcc
	s_cbranch_execz .LBB3_125
; %bb.122:                              ;   in Loop: Header=BB3_5 Depth=1
	v_lshl_add_u64 v[4:5], s[56:57], 3, v[12:13]
	v_mov_b64_e32 v[2:3], 0
	v_bfrev_b32_e32 v8, -2
	s_mov_b64 s[58:59], 0
	v_mov_b32_e32 v17, v0
.LBB3_123:                              ;   Parent Loop BB3_5 Depth=1
                                        ; =>  This Inner Loop Header: Depth=2
	global_load_dwordx2 v[18:19], v[4:5], off
	v_cmp_eq_u32_e32 vcc, s71, v8
	v_add_u32_e32 v20, 1, v17
	v_add_u32_e32 v17, 0x100, v17
	v_cmp_ge_i32_e64 s[0:1], v17, v16
	v_lshl_add_u64 v[4:5], v[4:5], 0, s[48:49]
	s_waitcnt vmcnt(0)
	v_cmp_lt_f64_e64 s[60:61], v[2:3], |v[18:19]|
	v_and_b32_e32 v21, 0x7fffffff, v19
	s_or_b64 vcc, s[60:61], vcc
	v_cndmask_b32_e32 v3, v3, v21, vcc
	v_cndmask_b32_e32 v2, v2, v18, vcc
	s_or_b64 s[58:59], s[0:1], s[58:59]
	v_cndmask_b32_e32 v8, v8, v20, vcc
	s_andn2_b64 exec, exec, s[58:59]
	s_cbranch_execnz .LBB3_123
; %bb.124:                              ;   in Loop: Header=BB3_5 Depth=1
	s_or_b64 exec, exec, s[58:59]
.LBB3_125:                              ;   in Loop: Header=BB3_5 Depth=1
	s_or_b64 exec, exec, s[12:13]
	v_cmp_eq_u32_e32 vcc, 1, v16
	s_and_b64 vcc, exec, vcc
	ds_write_b64 v6, v[2:3]
	ds_write_b32 v26, v8
	s_waitcnt lgkmcnt(0)
	s_barrier
	s_cbranch_vccnz .LBB3_160
; %bb.126:                              ;   in Loop: Header=BB3_5 Depth=1
	s_and_saveexec_b64 s[12:13], s[2:3]
	s_cbranch_execz .LBB3_132
; %bb.127:                              ;   in Loop: Header=BB3_5 Depth=1
	ds_read_b64 v[4:5], v6 offset:1024
	ds_read_b32 v16, v26 offset:512
	s_waitcnt lgkmcnt(1)
	v_cmp_lt_f64_e64 s[58:59], v[2:3], v[4:5]
	v_cmp_nlt_f64_e32 vcc, v[2:3], v[4:5]
	s_and_saveexec_b64 s[60:61], vcc
	s_cbranch_execz .LBB3_129
; %bb.128:                              ;   in Loop: Header=BB3_5 Depth=1
	v_cmp_eq_f64_e32 vcc, v[2:3], v[4:5]
	s_waitcnt lgkmcnt(0)
	v_cmp_gt_i32_e64 s[0:1], v8, v16
	s_and_b64 s[0:1], vcc, s[0:1]
	s_andn2_b64 s[58:59], s[58:59], exec
	s_and_b64 s[0:1], s[0:1], exec
	s_or_b64 s[58:59], s[58:59], s[0:1]
.LBB3_129:                              ;   in Loop: Header=BB3_5 Depth=1
	s_or_b64 exec, exec, s[60:61]
	s_and_saveexec_b64 s[0:1], s[58:59]
	s_cbranch_execz .LBB3_131
; %bb.130:                              ;   in Loop: Header=BB3_5 Depth=1
	s_waitcnt lgkmcnt(0)
	v_mov_b32_e32 v8, v16
	v_mov_b64_e32 v[2:3], v[4:5]
	ds_write_b64 v6, v[4:5]
	ds_write_b32 v26, v16
.LBB3_131:                              ;   in Loop: Header=BB3_5 Depth=1
	s_or_b64 exec, exec, s[0:1]
.LBB3_132:                              ;   in Loop: Header=BB3_5 Depth=1
	s_or_b64 exec, exec, s[12:13]
	s_waitcnt lgkmcnt(0)
	s_barrier
	s_and_saveexec_b64 s[58:59], s[4:5]
	s_cbranch_execz .LBB3_159
; %bb.133:                              ;   in Loop: Header=BB3_5 Depth=1
	ds_read_b64 v[4:5], v6 offset:512
	ds_read_b32 v16, v26 offset:256
	s_waitcnt lgkmcnt(1)
	v_cmp_lt_f64_e64 s[12:13], v[2:3], v[4:5]
	v_cmp_nlt_f64_e32 vcc, v[2:3], v[4:5]
	s_and_saveexec_b64 s[60:61], vcc
	s_cbranch_execz .LBB3_135
; %bb.134:                              ;   in Loop: Header=BB3_5 Depth=1
	v_cmp_eq_f64_e32 vcc, v[2:3], v[4:5]
	s_waitcnt lgkmcnt(0)
	v_cmp_gt_i32_e64 s[0:1], v8, v16
	s_and_b64 s[0:1], vcc, s[0:1]
	s_andn2_b64 s[12:13], s[12:13], exec
	s_and_b64 s[0:1], s[0:1], exec
	s_or_b64 s[12:13], s[12:13], s[0:1]
.LBB3_135:                              ;   in Loop: Header=BB3_5 Depth=1
	s_or_b64 exec, exec, s[60:61]
	s_and_saveexec_b64 s[0:1], s[12:13]
	s_cbranch_execz .LBB3_137
; %bb.136:                              ;   in Loop: Header=BB3_5 Depth=1
	v_mov_b64_e32 v[2:3], v[4:5]
	s_waitcnt lgkmcnt(0)
	v_mov_b32_e32 v8, v16
	ds_write_b64 v6, v[4:5]
	ds_write_b32 v26, v16
.LBB3_137:                              ;   in Loop: Header=BB3_5 Depth=1
	s_or_b64 exec, exec, s[0:1]
	ds_read_b64 v[4:5], v6 offset:256
	s_waitcnt lgkmcnt(1)
	ds_read_b32 v16, v26 offset:128
	s_waitcnt lgkmcnt(1)
	v_cmp_lt_f64_e64 s[12:13], v[2:3], v[4:5]
	v_cmp_nlt_f64_e32 vcc, v[2:3], v[4:5]
	s_and_saveexec_b64 s[60:61], vcc
	s_cbranch_execz .LBB3_139
; %bb.138:                              ;   in Loop: Header=BB3_5 Depth=1
	v_cmp_eq_f64_e32 vcc, v[2:3], v[4:5]
	s_waitcnt lgkmcnt(0)
	v_cmp_gt_i32_e64 s[0:1], v8, v16
	s_and_b64 s[0:1], vcc, s[0:1]
	s_andn2_b64 s[12:13], s[12:13], exec
	s_and_b64 s[0:1], s[0:1], exec
	s_or_b64 s[12:13], s[12:13], s[0:1]
.LBB3_139:                              ;   in Loop: Header=BB3_5 Depth=1
	s_or_b64 exec, exec, s[60:61]
	s_and_saveexec_b64 s[0:1], s[12:13]
	s_cbranch_execz .LBB3_141
; %bb.140:                              ;   in Loop: Header=BB3_5 Depth=1
	v_mov_b64_e32 v[2:3], v[4:5]
	s_waitcnt lgkmcnt(0)
	v_mov_b32_e32 v8, v16
	ds_write_b64 v6, v[4:5]
	ds_write_b32 v26, v16
.LBB3_141:                              ;   in Loop: Header=BB3_5 Depth=1
	s_or_b64 exec, exec, s[0:1]
	ds_read_b64 v[4:5], v6 offset:128
	s_waitcnt lgkmcnt(1)
	;; [unrolled: 28-line block ×6, first 2 shown]
	ds_read_b32 v16, v26 offset:4
	s_waitcnt lgkmcnt(1)
	v_cmp_eq_f64_e64 s[0:1], v[2:3], v[4:5]
	s_waitcnt lgkmcnt(0)
	v_cmp_gt_i32_e64 s[12:13], v8, v16
	v_cmp_lt_f64_e32 vcc, v[2:3], v[4:5]
	s_and_b64 s[0:1], s[0:1], s[12:13]
	s_or_b64 s[0:1], vcc, s[0:1]
	s_and_b64 exec, exec, s[0:1]
	s_cbranch_execz .LBB3_159
; %bb.158:                              ;   in Loop: Header=BB3_5 Depth=1
	ds_write_b64 v6, v[4:5]
	ds_write_b32 v26, v16
.LBB3_159:                              ;   in Loop: Header=BB3_5 Depth=1
	s_or_b64 exec, exec, s[58:59]
.LBB3_160:                              ;   in Loop: Header=BB3_5 Depth=1
	s_and_saveexec_b64 s[0:1], s[10:11]
	s_cbranch_execz .LBB3_162
; %bb.161:                              ;   in Loop: Header=BB3_5 Depth=1
	ds_read_b64 v[2:3], v9 offset:3088
	ds_read_b64 v[4:5], v9
	s_waitcnt lgkmcnt(0)
	v_cmp_lt_f64_e32 vcc, v[2:3], v[4:5]
	s_nop 1
	v_cndmask_b32_e32 v3, v3, v5, vcc
	v_cndmask_b32_e32 v2, v2, v4, vcc
	ds_write_b64 v9, v[2:3] offset:3088
.LBB3_162:                              ;   in Loop: Header=BB3_5 Depth=1
	s_or_b64 exec, exec, s[0:1]
.LBB3_163:                              ;   in Loop: Header=BB3_5 Depth=1
	s_waitcnt lgkmcnt(0)
	s_barrier
	ds_read_b128 v[16:19], v9 offset:3072
	ds_read_b64 v[2:3], v9 offset:3088
	s_waitcnt lgkmcnt(1)
	v_mul_f64 v[22:23], v[18:19], s[50:51]
	s_waitcnt lgkmcnt(0)
	v_div_scale_f64 v[4:5], s[0:1], v[2:3], v[2:3], v[18:19]
	v_rcp_f64_e32 v[20:21], v[4:5]
	s_nop 0
	v_fma_f64 v[24:25], -v[4:5], v[20:21], 1.0
	v_fmac_f64_e32 v[20:21], v[20:21], v[24:25]
	v_fma_f64 v[24:25], -v[4:5], v[20:21], 1.0
	v_fmac_f64_e32 v[20:21], v[20:21], v[24:25]
	v_div_scale_f64 v[24:25], vcc, v[18:19], v[2:3], v[18:19]
	v_mul_f64 v[28:29], v[24:25], v[20:21]
	v_fma_f64 v[4:5], -v[4:5], v[28:29], v[24:25]
	s_nop 1
	v_div_fmas_f64 v[4:5], v[4:5], v[20:21], v[28:29]
	v_div_fixup_f64 v[4:5], v[4:5], v[2:3], v[18:19]
	v_mul_f64 v[4:5], v[22:23], v[4:5]
	v_cmp_ge_f64_e32 vcc, v[16:17], v[4:5]
	s_cbranch_vccnz .LBB3_169
; %bb.164:                              ;   in Loop: Header=BB3_5 Depth=1
	ds_read_b32 v8, v9 offset:3096
	v_mul_f64 v[2:3], v[2:3], s[50:51]
	s_waitcnt lgkmcnt(0)
	v_readfirstlane_b32 s0, v8
	s_add_i32 s0, s0, s56
	s_ashr_i32 s1, s0, 31
	s_lshl_b64 s[0:1], s[0:1], 3
	s_add_u32 s0, s16, s0
	s_addc_u32 s1, s17, s1
	global_load_dwordx2 v[4:5], v9, s[0:1]
	v_readfirstlane_b32 s55, v8
	s_waitcnt vmcnt(0)
	v_cmp_nge_f64_e64 s[0:1], |v[4:5]|, v[2:3]
	s_and_b64 vcc, exec, s[0:1]
	s_cbranch_vccnz .LBB3_211
; %bb.165:                              ;   in Loop: Header=BB3_5 Depth=1
	s_and_saveexec_b64 s[0:1], s[8:9]
	s_cbranch_execz .LBB3_168
; %bb.166:                              ;   in Loop: Header=BB3_5 Depth=1
	v_add_u32_e32 v2, s54, v0
	v_add_u32_e32 v4, s56, v0
	v_ashrrev_i32_e32 v3, 31, v2
	v_ashrrev_i32_e32 v5, 31, v4
	v_lshl_add_u64 v[2:3], v[2:3], 3, s[16:17]
	v_lshl_add_u64 v[4:5], v[4:5], 3, s[16:17]
	s_mov_b64 s[8:9], 0
	v_mov_b32_e32 v8, v0
.LBB3_167:                              ;   Parent Loop BB3_5 Depth=1
                                        ; =>  This Inner Loop Header: Depth=2
	global_load_dwordx2 v[16:17], v[4:5], off
	v_add_u32_e32 v8, 0x100, v8
	v_cmp_lt_i32_e32 vcc, s14, v8
	v_lshl_add_u64 v[4:5], v[4:5], 0, s[48:49]
	s_or_b64 s[8:9], vcc, s[8:9]
	s_waitcnt vmcnt(0)
	global_store_dwordx2 v[2:3], v[16:17], off
	v_lshl_add_u64 v[2:3], v[2:3], 0, s[48:49]
	s_andn2_b64 exec, exec, s[8:9]
	s_cbranch_execnz .LBB3_167
.LBB3_168:                              ;   in Loop: Header=BB3_5 Depth=1
	s_or_b64 exec, exec, s[0:1]
	s_mov_b64 s[0:1], -1
	s_mov_b32 s8, -1
	s_barrier
	s_add_i32 s8, s8, s14
	s_add_i32 s58, s8, 1
	s_cmp_eq_u32 s55, s58
	s_cbranch_scc0 .LBB3_170
	s_branch .LBB3_185
.LBB3_169:                              ;   in Loop: Header=BB3_5 Depth=1
	s_mov_b64 s[0:1], -1
	s_mov_b32 s8, -1
	s_mov_b32 s55, s14
	s_add_i32 s8, s8, s14
	s_add_i32 s58, s8, 1
	s_cmp_eq_u32 s55, s58
	s_cbranch_scc1 .LBB3_185
.LBB3_170:                              ;   in Loop: Header=BB3_5 Depth=1
	s_and_saveexec_b64 s[12:13], s[10:11]
	s_cbranch_execz .LBB3_172
; %bb.171:                              ;   in Loop: Header=BB3_5 Depth=1
	s_mul_i32 s56, s58, s67
	s_ashr_i32 s57, s56, 31
	s_lshl_b64 s[56:57], s[56:57], 3
	s_add_u32 s56, s28, s56
	s_addc_u32 s57, s29, s57
	global_load_dwordx2 v[2:3], v9, s[56:57]
	s_mul_i32 s56, s55, s67
	s_ashr_i32 s57, s56, 31
	s_lshl_b64 s[56:57], s[56:57], 3
	s_add_u32 s56, s28, s56
	s_addc_u32 s57, s29, s57
	s_waitcnt vmcnt(0)
	global_store_dwordx2 v9, v[2:3], s[56:57]
.LBB3_172:                              ;   in Loop: Header=BB3_5 Depth=1
	s_or_b64 exec, exec, s[12:13]
	s_sub_i32 s59, s8, s55
	v_cmp_gt_i32_e32 vcc, s59, v0
	s_mul_i32 s9, s58, s25
	s_and_saveexec_b64 s[12:13], vcc
	s_cbranch_execz .LBB3_175
; %bb.173:                              ;   in Loop: Header=BB3_5 Depth=1
	v_add_u32_e32 v2, s55, v1
	s_add_i32 s60, s55, s9
	v_mul_lo_u32 v2, s25, v2
	v_add_u32_e32 v2, s55, v2
	s_add_i32 s60, s60, 1
	s_mov_b64 s[56:57], 0
	v_mov_b32_e32 v4, v0
.LBB3_174:                              ;   Parent Loop BB3_5 Depth=1
                                        ; =>  This Inner Loop Header: Depth=2
	v_add_u32_e32 v16, s60, v4
	v_ashrrev_i32_e32 v17, 31, v16
	v_lshl_add_u64 v[16:17], v[16:17], 3, s[28:29]
	global_load_dwordx2 v[16:17], v[16:17], off
	v_add_u32_e32 v4, 0x100, v4
	v_ashrrev_i32_e32 v3, 31, v2
	v_cmp_le_i32_e32 vcc, s59, v4
	v_lshl_add_u64 v[18:19], v[2:3], 3, s[28:29]
	v_add_u32_e32 v2, s69, v2
	s_or_b64 s[56:57], vcc, s[56:57]
	s_waitcnt vmcnt(0)
	global_store_dwordx2 v[18:19], v[16:17], off
	s_andn2_b64 exec, exec, s[56:57]
	s_cbranch_execnz .LBB3_174
.LBB3_175:                              ;   in Loop: Header=BB3_5 Depth=1
	s_or_b64 exec, exec, s[12:13]
	v_cmp_gt_i32_e32 vcc, s55, v0
	s_and_saveexec_b64 s[12:13], vcc
	s_cbranch_execz .LBB3_178
; %bb.176:                              ;   in Loop: Header=BB3_5 Depth=1
	s_mul_i32 s56, s55, s25
	v_add_u32_e32 v2, s56, v0
	v_add_u32_e32 v4, s9, v0
	v_ashrrev_i32_e32 v3, 31, v2
	v_ashrrev_i32_e32 v5, 31, v4
	v_lshl_add_u64 v[2:3], v[2:3], 3, s[42:43]
	v_lshl_add_u64 v[4:5], v[4:5], 3, s[42:43]
	s_mov_b64 s[56:57], 0
	v_mov_b32_e32 v8, v0
.LBB3_177:                              ;   Parent Loop BB3_5 Depth=1
                                        ; =>  This Inner Loop Header: Depth=2
	global_load_dwordx2 v[16:17], v[4:5], off
	v_add_u32_e32 v8, 0x100, v8
	v_cmp_le_i32_e32 vcc, s55, v8
	v_lshl_add_u64 v[4:5], v[4:5], 0, s[48:49]
	s_or_b64 s[56:57], vcc, s[56:57]
	s_waitcnt vmcnt(0)
	global_store_dwordx2 v[2:3], v[16:17], off
	v_lshl_add_u64 v[2:3], v[2:3], 0, s[48:49]
	s_andn2_b64 exec, exec, s[56:57]
	s_cbranch_execnz .LBB3_177
.LBB3_178:                              ;   in Loop: Header=BB3_5 Depth=1
	s_or_b64 exec, exec, s[12:13]
	s_not_b32 s9, s14
	s_add_i32 s59, s26, s9
	v_cmp_gt_i32_e32 vcc, s59, v0
	s_barrier
	s_and_saveexec_b64 s[12:13], vcc
	s_cbranch_execz .LBB3_181
; %bb.179:                              ;   in Loop: Header=BB3_5 Depth=1
	v_add_u32_e32 v2, s14, v1
	s_ashr_i32 s9, s8, 31
	v_mul_lo_u32 v2, s25, v2
	s_mov_b64 s[56:57], 0
	v_mov_b32_e32 v4, v0
.LBB3_180:                              ;   Parent Loop BB3_5 Depth=1
                                        ; =>  This Inner Loop Header: Depth=2
	v_add_u32_e32 v18, s55, v2
	v_ashrrev_i32_e32 v3, 31, v2
	v_ashrrev_i32_e32 v19, 31, v18
	v_lshl_add_u64 v[16:17], v[2:3], 0, s[8:9]
	v_lshl_add_u64 v[18:19], v[18:19], 3, s[28:29]
	;; [unrolled: 1-line block ×3, first 2 shown]
	global_load_dwordx2 v[20:21], v[18:19], off
	global_load_dwordx2 v[22:23], v[16:17], off offset:8
	v_add_u32_e32 v4, 0x100, v4
	v_cmp_le_i32_e32 vcc, s59, v4
	s_or_b64 s[56:57], vcc, s[56:57]
	v_add_u32_e32 v2, s69, v2
	s_waitcnt vmcnt(1)
	global_store_dwordx2 v[16:17], v[20:21], off offset:8
	s_waitcnt vmcnt(1)
	global_store_dwordx2 v[18:19], v[22:23], off
	s_andn2_b64 exec, exec, s[56:57]
	s_cbranch_execnz .LBB3_180
.LBB3_181:                              ;   in Loop: Header=BB3_5 Depth=1
	s_or_b64 exec, exec, s[12:13]
	s_sub_i32 s58, s26, s58
	v_cmp_gt_i32_e32 vcc, s58, v0
	s_and_saveexec_b64 s[12:13], vcc
	s_cbranch_execz .LBB3_184
; %bb.182:                              ;   in Loop: Header=BB3_5 Depth=1
	v_add_u32_e32 v2, s8, v7
	s_ashr_i32 s9, s8, 31
	v_mul_lo_u32 v2, s26, v2
	s_mov_b64 s[56:57], 0
	v_mov_b32_e32 v4, v0
.LBB3_183:                              ;   Parent Loop BB3_5 Depth=1
                                        ; =>  This Inner Loop Header: Depth=2
	v_add_u32_e32 v18, s55, v2
	v_ashrrev_i32_e32 v3, 31, v2
	v_ashrrev_i32_e32 v19, 31, v18
	v_lshl_add_u64 v[16:17], v[2:3], 0, s[8:9]
	v_lshl_add_u64 v[18:19], v[18:19], 3, s[16:17]
	;; [unrolled: 1-line block ×3, first 2 shown]
	global_load_dwordx2 v[20:21], v[18:19], off
	global_load_dwordx2 v[22:23], v[16:17], off offset:8
	v_add_u32_e32 v4, 0x100, v4
	v_cmp_le_i32_e32 vcc, s58, v4
	s_or_b64 s[56:57], vcc, s[56:57]
	v_add_u32_e32 v2, s70, v2
	s_waitcnt vmcnt(1)
	global_store_dwordx2 v[16:17], v[20:21], off offset:8
	s_waitcnt vmcnt(1)
	global_store_dwordx2 v[18:19], v[22:23], off
	s_andn2_b64 exec, exec, s[56:57]
	s_cbranch_execnz .LBB3_183
.LBB3_184:                              ;   in Loop: Header=BB3_5 Depth=1
	s_or_b64 exec, exec, s[12:13]
	s_barrier
.LBB3_185:                              ;   in Loop: Header=BB3_5 Depth=1
	s_xor_b64 s[0:1], s[0:1], -1
	s_mov_b64 s[8:9], -1
	s_and_b64 vcc, exec, s[0:1]
	s_cbranch_vccz .LBB3_194
; %bb.186:                              ;   in Loop: Header=BB3_5 Depth=1
	s_cmp_lt_i32 s14, 2
	s_cbranch_scc1 .LBB3_191
; %bb.187:                              ;   in Loop: Header=BB3_5 Depth=1
	s_add_i32 s56, s14, -2
	v_cmp_ge_i32_e32 vcc, s56, v0
	s_and_saveexec_b64 s[8:9], vcc
	s_cbranch_execz .LBB3_190
; %bb.188:                              ;   in Loop: Header=BB3_5 Depth=1
	s_add_i32 s57, s14, -1
	s_ashr_i32 s1, s54, 31
	s_ashr_i32 s58, s14, 31
	s_add_u32 s0, s54, s14
	s_addc_u32 s1, s1, s58
	s_lshl_b64 s[0:1], s[0:1], 3
	s_add_u32 s0, s16, s0
	s_addc_u32 s1, s17, s1
	s_add_i32 s12, s54, s14
	s_ashr_i32 s13, s12, 31
	s_lshl_b64 s[12:13], s[12:13], 3
	s_add_u32 s12, s16, s12
	s_addc_u32 s13, s17, s13
	global_load_dwordx2 v[22:23], v9, s[0:1] offset:-8
	global_load_dwordx2 v[18:19], v9, s[12:13]
	s_add_i32 s0, s72, -1
	s_mul_i32 s59, s0, s26
	s_ashr_i32 s1, s59, 31
	s_add_u32 s0, s59, s14
	s_addc_u32 s1, s1, s58
	s_lshl_b64 s[0:1], s[0:1], 3
	s_add_u32 s0, s16, s0
	s_addc_u32 s1, s17, s1
	global_load_dwordx2 v[20:21], v9, s[0:1] offset:-8
	s_mul_i32 s0, s14, s25
	v_add_u32_e32 v4, s0, v0
	v_add_u32_e32 v24, s59, v0
	v_ashrrev_i32_e32 v25, 31, v24
	s_mul_i32 s57, s57, s25
	v_add_u32_e32 v2, s54, v0
	v_add_u32_e32 v16, s57, v0
	v_ashrrev_i32_e32 v3, 31, v2
	v_ashrrev_i32_e32 v5, 31, v4
	;; [unrolled: 1-line block ×3, first 2 shown]
	s_mov_b64 s[12:13], 0
	v_lshl_add_u64 v[2:3], v[2:3], 3, s[16:17]
	v_lshl_add_u64 v[4:5], v[4:5], 3, s[42:43]
	;; [unrolled: 1-line block ×3, first 2 shown]
	v_mov_b32_e32 v8, v0
	s_waitcnt vmcnt(1)
	v_div_scale_f64 v[28:29], s[0:1], v[22:23], v[22:23], v[18:19]
	v_rcp_f64_e32 v[30:31], v[28:29]
	v_div_scale_f64 v[32:33], vcc, v[18:19], v[22:23], v[18:19]
	v_fma_f64 v[34:35], -v[28:29], v[30:31], 1.0
	v_fmac_f64_e32 v[30:31], v[30:31], v[34:35]
	v_fma_f64 v[34:35], -v[28:29], v[30:31], 1.0
	s_waitcnt vmcnt(0)
	v_div_scale_f64 v[36:37], s[0:1], v[22:23], v[22:23], v[20:21]
	v_fmac_f64_e32 v[30:31], v[30:31], v[34:35]
	v_rcp_f64_e32 v[34:35], v[36:37]
	v_mul_f64 v[40:41], v[32:33], v[30:31]
	v_fma_f64 v[28:29], -v[28:29], v[40:41], v[32:33]
	v_div_fmas_f64 v[28:29], v[28:29], v[30:31], v[40:41]
	v_div_fixup_f64 v[18:19], v[28:29], v[22:23], v[18:19]
	v_fma_f64 v[28:29], -v[36:37], v[34:35], 1.0
	v_fmac_f64_e32 v[34:35], v[34:35], v[28:29]
	v_fma_f64 v[28:29], -v[36:37], v[34:35], 1.0
	v_div_scale_f64 v[38:39], s[0:1], v[20:21], v[22:23], v[20:21]
	v_fmac_f64_e32 v[34:35], v[34:35], v[28:29]
	v_mul_f64 v[28:29], v[38:39], v[34:35]
	v_fma_f64 v[30:31], -v[36:37], v[28:29], v[38:39]
	s_mov_b64 vcc, s[0:1]
	v_div_fmas_f64 v[28:29], v[30:31], v[34:35], v[28:29]
	v_div_fixup_f64 v[20:21], v[28:29], v[22:23], v[20:21]
	v_fma_f64 v[28:29], v[18:19], v[20:21], -1.0
	v_mul_f64 v[28:29], v[22:23], v[28:29]
	v_div_scale_f64 v[30:31], s[0:1], v[28:29], v[28:29], 1.0
	v_rcp_f64_e32 v[32:33], v[30:31]
	v_lshl_add_u64 v[22:23], v[24:25], 3, s[16:17]
	v_div_scale_f64 v[24:25], vcc, 1.0, v[28:29], 1.0
	v_fma_f64 v[34:35], -v[30:31], v[32:33], 1.0
	v_fmac_f64_e32 v[32:33], v[32:33], v[34:35]
	v_fma_f64 v[34:35], -v[30:31], v[32:33], 1.0
	v_fmac_f64_e32 v[32:33], v[32:33], v[34:35]
	v_mul_f64 v[34:35], v[24:25], v[32:33]
	v_fma_f64 v[24:25], -v[30:31], v[34:35], v[24:25]
	v_div_fmas_f64 v[24:25], v[24:25], v[32:33], v[34:35]
	v_div_fixup_f64 v[24:25], v[24:25], v[28:29], 1.0
.LBB3_189:                              ;   Parent Loop BB3_5 Depth=1
                                        ; =>  This Inner Loop Header: Depth=2
	global_load_dwordx2 v[28:29], v[22:23], off
	global_load_dwordx2 v[30:31], v[2:3], off
	v_add_u32_e32 v8, 0x100, v8
	v_cmp_lt_i32_e32 vcc, s56, v8
	s_or_b64 s[12:13], vcc, s[12:13]
	s_waitcnt vmcnt(0)
	v_fma_f64 v[28:29], v[18:19], v[28:29], -v[30:31]
	v_mul_f64 v[28:29], v[24:25], v[28:29]
	global_store_dwordx2 v[16:17], v[28:29], off
	global_load_dwordx2 v[28:29], v[2:3], off
	s_nop 0
	global_load_dwordx2 v[30:31], v[22:23], off
	v_lshl_add_u64 v[16:17], v[16:17], 0, s[48:49]
	v_lshl_add_u64 v[2:3], v[2:3], 0, s[48:49]
	;; [unrolled: 1-line block ×3, first 2 shown]
	s_waitcnt vmcnt(0)
	v_fma_f64 v[28:29], v[20:21], v[28:29], -v[30:31]
	v_mul_f64 v[28:29], v[24:25], v[28:29]
	global_store_dwordx2 v[4:5], v[28:29], off
	v_lshl_add_u64 v[4:5], v[4:5], 0, s[48:49]
	s_andn2_b64 exec, exec, s[12:13]
	s_cbranch_execnz .LBB3_189
.LBB3_190:                              ;   in Loop: Header=BB3_5 Depth=1
	s_or_b64 exec, exec, s[8:9]
.LBB3_191:                              ;   in Loop: Header=BB3_5 Depth=1
	s_and_saveexec_b64 s[0:1], s[10:11]
	s_cbranch_execz .LBB3_193
; %bb.192:                              ;   in Loop: Header=BB3_5 Depth=1
	s_add_i32 s8, s72, -1
	s_mul_i32 s8, s8, s26
	s_add_i32 s12, s14, -1
	s_ashr_i32 s9, s8, 31
	s_ashr_i32 s56, s14, 31
	s_add_u32 s8, s8, s14
	s_addc_u32 s9, s9, s56
	s_lshl_b64 s[8:9], s[8:9], 3
	s_add_u32 s8, s16, s8
	s_addc_u32 s9, s17, s9
	global_load_dwordx2 v[2:3], v9, s[8:9] offset:-8
	s_mul_i32 s8, s12, s67
	s_ashr_i32 s9, s8, 31
	s_lshl_b64 s[8:9], s[8:9], 3
	s_add_u32 s8, s28, s8
	s_addc_u32 s9, s29, s9
	s_ashr_i32 s13, s54, 31
	s_add_u32 s12, s54, s14
	s_addc_u32 s13, s13, s56
	s_lshl_b64 s[12:13], s[12:13], 3
	s_add_u32 s12, s16, s12
	s_addc_u32 s13, s17, s13
	s_mul_i32 s57, s14, s25
	s_waitcnt vmcnt(0)
	global_store_dwordx2 v9, v[2:3], s[8:9]
	global_load_dwordx2 v[2:3], v9, s[12:13] offset:-8
	s_ashr_i32 s9, s57, 31
	s_add_u32 s8, s14, s57
	s_addc_u32 s9, s56, s9
	s_lshl_b64 s[8:9], s[8:9], 3
	s_add_u32 s8, s28, s8
	s_addc_u32 s9, s29, s9
	s_add_i32 s12, s54, s14
	s_ashr_i32 s13, s12, 31
	s_lshl_b64 s[12:13], s[12:13], 3
	s_add_u32 s12, s16, s12
	s_addc_u32 s13, s17, s13
	s_waitcnt vmcnt(0)
	global_store_dwordx2 v9, v[2:3], s[8:9] offset:-8
	global_load_dwordx2 v[2:3], v9, s[12:13]
	s_add_i32 s8, s57, s14
	s_ashr_i32 s9, s8, 31
	s_lshl_b64 s[8:9], s[8:9], 3
	s_add_u32 s8, s28, s8
	s_addc_u32 s9, s29, s9
	s_waitcnt vmcnt(0)
	global_store_dwordx2 v9, v[2:3], s[8:9]
.LBB3_193:                              ;   in Loop: Header=BB3_5 Depth=1
	s_or_b64 exec, exec, s[0:1]
	s_mov_b64 s[8:9], 0
	s_barrier
.LBB3_194:                              ;   in Loop: Header=BB3_5 Depth=1
	s_mov_b64 s[0:1], 0
	s_mov_b32 s12, -2
	s_and_b64 vcc, exec, s[8:9]
	s_mov_b64 s[8:9], 0
	s_cbranch_vccz .LBB3_201
; %bb.195:                              ;   in Loop: Header=BB3_5 Depth=1
	s_add_i32 s8, s54, s14
	s_ashr_i32 s9, s8, 31
	s_lshl_b64 s[8:9], s[8:9], 3
	s_add_u32 s8, s16, s8
	s_addc_u32 s9, s17, s9
	global_load_dwordx2 v[2:3], v9, s[8:9]
	s_and_saveexec_b64 s[8:9], s[10:11]
	s_cbranch_execz .LBB3_197
; %bb.196:                              ;   in Loop: Header=BB3_5 Depth=1
	s_mul_i32 s12, s14, s67
	s_ashr_i32 s13, s12, 31
	s_lshl_b64 s[12:13], s[12:13], 3
	s_add_u32 s12, s28, s12
	s_addc_u32 s13, s29, s13
	s_waitcnt vmcnt(0)
	global_store_dwordx2 v9, v[2:3], s[12:13]
.LBB3_197:                              ;   in Loop: Header=BB3_5 Depth=1
	s_or_b64 exec, exec, s[8:9]
	s_and_saveexec_b64 s[8:9], s[6:7]
	s_cbranch_execz .LBB3_200
; %bb.198:                              ;   in Loop: Header=BB3_5 Depth=1
	s_waitcnt vmcnt(0)
	v_div_scale_f64 v[4:5], s[6:7], v[2:3], v[2:3], 1.0
	v_rcp_f64_e32 v[16:17], v[4:5]
	v_div_scale_f64 v[18:19], vcc, 1.0, v[2:3], 1.0
	s_mul_i32 s6, s14, s25
	v_fma_f64 v[20:21], -v[4:5], v[16:17], 1.0
	v_fmac_f64_e32 v[16:17], v[16:17], v[20:21]
	v_fma_f64 v[20:21], -v[4:5], v[16:17], 1.0
	v_fmac_f64_e32 v[16:17], v[16:17], v[20:21]
	v_mul_f64 v[20:21], v[18:19], v[16:17]
	v_fma_f64 v[4:5], -v[4:5], v[20:21], v[18:19]
	v_div_fmas_f64 v[4:5], v[4:5], v[16:17], v[20:21]
	v_div_fixup_f64 v[2:3], v[4:5], v[2:3], 1.0
	v_add_u32_e32 v4, s6, v0
	v_add_u32_e32 v16, s54, v0
	v_ashrrev_i32_e32 v5, 31, v4
	v_ashrrev_i32_e32 v17, 31, v16
	v_lshl_add_u64 v[4:5], v[4:5], 3, s[42:43]
	v_lshl_add_u64 v[16:17], v[16:17], 3, s[16:17]
	s_mov_b64 s[6:7], 0
	v_mov_b32_e32 v8, v0
.LBB3_199:                              ;   Parent Loop BB3_5 Depth=1
                                        ; =>  This Inner Loop Header: Depth=2
	global_load_dwordx2 v[18:19], v[16:17], off
	v_add_u32_e32 v8, 0x100, v8
	v_cmp_le_i32_e32 vcc, s14, v8
	v_lshl_add_u64 v[16:17], v[16:17], 0, s[48:49]
	s_or_b64 s[6:7], vcc, s[6:7]
	s_waitcnt vmcnt(0)
	v_mul_f64 v[18:19], v[2:3], v[18:19]
	global_store_dwordx2 v[4:5], v[18:19], off
	v_lshl_add_u64 v[4:5], v[4:5], 0, s[48:49]
	s_andn2_b64 exec, exec, s[6:7]
	s_cbranch_execnz .LBB3_199
.LBB3_200:                              ;   in Loop: Header=BB3_5 Depth=1
	s_or_b64 exec, exec, s[8:9]
	s_barrier
	s_mov_b64 s[8:9], -1
	s_mov_b32 s12, -1
.LBB3_201:                              ;   in Loop: Header=BB3_5 Depth=1
	s_and_b64 vcc, exec, s[0:1]
	s_cbranch_vccz .LBB3_205
; %bb.202:                              ;   in Loop: Header=BB3_5 Depth=1
	s_waitcnt vmcnt(0)
	ds_read_b32 v2, v9 offset:3100
	s_waitcnt lgkmcnt(0)
	v_readfirstlane_b32 s0, v2
	s_cmp_eq_u32 s0, 0
	s_cselect_b64 s[0:1], -1, 0
	s_and_b64 s[6:7], s[10:11], s[0:1]
	s_and_saveexec_b64 s[0:1], s[6:7]
; %bb.203:                              ;   in Loop: Header=BB3_5 Depth=1
	s_add_i32 s6, s14, 1
	v_mov_b32_e32 v2, s6
	ds_write_b32 v9, v2 offset:3100
; %bb.204:                              ;   in Loop: Header=BB3_5 Depth=1
	s_or_b64 exec, exec, s[0:1]
	s_mov_b32 s12, -1
	s_mov_b64 s[8:9], -1
	s_mov_b32 s55, s14
.LBB3_205:                              ;   in Loop: Header=BB3_5 Depth=1
	s_and_saveexec_b64 s[0:1], s[10:11]
	s_cbranch_execz .LBB3_210
; %bb.206:                              ;   in Loop: Header=BB3_5 Depth=1
	s_xor_b64 s[56:57], s[8:9], -1
	s_lshl_b64 s[6:7], s[14:15], 2
	s_add_u32 s6, s24, s6
	s_addc_u32 s7, s33, s7
	s_mov_b64 s[8:9], -1
	s_and_b64 vcc, exec, s[56:57]
	s_cbranch_vccz .LBB3_208
; %bb.207:                              ;   in Loop: Header=BB3_5 Depth=1
	s_not_b32 s8, s55
	s_waitcnt vmcnt(0)
	v_mov_b32_e32 v2, s8
	v_mov_b32_e32 v3, s8
	global_store_dwordx2 v9, v[2:3], s[6:7] offset:-4
	s_mov_b64 s[8:9], 0
.LBB3_208:                              ;   in Loop: Header=BB3_5 Depth=1
	s_andn2_b64 vcc, exec, s[8:9]
	s_cbranch_vccnz .LBB3_210
; %bb.209:                              ;   in Loop: Header=BB3_5 Depth=1
	s_add_i32 s8, s55, 1
	s_waitcnt vmcnt(0)
	v_mov_b32_e32 v2, s8
	global_store_dword v9, v2, s[6:7]
.LBB3_210:                              ;   in Loop: Header=BB3_5 Depth=1
	s_or_b64 exec, exec, s[0:1]
	s_add_i32 s14, s12, s14
	s_add_i32 s72, s14, s65
	s_cmp_lt_i32 s14, 0
	s_cselect_b64 s[0:1], -1, 0
	s_and_b64 vcc, exec, s[0:1]
	s_cbranch_vccz .LBB3_5
	s_branch .LBB3_212
.LBB3_211:                              ;   in Loop: Header=BB3_5 Depth=1
	s_mov_b64 s[0:1], 0
	s_mov_b32 s8, -2
	s_add_i32 s8, s8, s14
	s_add_i32 s58, s8, 1
	s_cmp_eq_u32 s55, s58
	s_cbranch_scc0 .LBB3_170
	s_branch .LBB3_185
.LBB3_212:
	s_add_i32 s4, s72, 1
.LBB3_213:
	s_and_saveexec_b64 s[0:1], s[10:11]
	s_cbranch_execz .LBB3_215
; %bb.214:
	s_lshl_b64 s[2:3], s[40:41], 2
	s_add_u32 s6, s20, s2
	s_addc_u32 s7, s21, s3
	s_waitcnt vmcnt(0)
	v_mov_b32_e32 v2, 0
	s_add_u32 s2, s18, s2
	ds_read_b32 v3, v2 offset:3100
	s_addc_u32 s3, s19, s3
	s_not_b32 s5, s14
	s_add_i32 s5, s26, s5
	v_mov_b32_e32 v4, s5
	global_store_dword v2, v4, s[6:7]
	s_waitcnt lgkmcnt(0)
	global_store_dword v2, v3, s[2:3]
.LBB3_215:
	s_or_b64 exec, exec, s[0:1]
	s_abs_i32 s0, s27
	s_waitcnt vmcnt(0)
	v_cvt_f32_u32_e32 v2, s0
	s_sub_i32 s3, 0, s0
	s_abs_i32 s2, s14
	s_ashr_i32 s1, s14, 31
	v_rcp_iflag_f32_e32 v2, v2
	s_nop 0
	v_mul_f32_e32 v2, 0x4f7ffffe, v2
	v_cvt_u32_f32_e32 v2, v2
	s_nop 0
	v_readfirstlane_b32 s5, v2
	s_mul_i32 s3, s3, s5
	s_mul_hi_u32 s3, s5, s3
	s_add_i32 s5, s5, s3
	s_mul_hi_u32 s3, s2, s5
	s_mul_i32 s3, s3, s0
	s_sub_i32 s2, s2, s3
	s_sub_i32 s3, s2, s0
	s_cmp_ge_u32 s2, s0
	s_cselect_b32 s2, s3, s2
	s_sub_i32 s3, s2, s0
	s_cmp_ge_u32 s2, s0
	s_cselect_b32 s0, s3, s2
	s_xor_b32 s0, s0, s1
	s_sub_i32 s0, s1, s0
	s_add_i32 s2, s14, s0
	s_add_i32 s0, s14, 1
	s_cmp_lt_i32 s2, 0
	s_mov_b32 s3, 0
	s_cbranch_scc1 .LBB3_234
; %bb.216:
	s_not_b32 s1, s14
	s_mul_i32 s6, s0, s25
	s_mul_i32 s8, s4, s26
	s_add_i32 s1, s26, s1
	s_ashr_i32 s7, s6, 31
	s_ashr_i32 s9, s8, 31
	s_cmp_gt_i32 s1, 0
	s_cselect_b64 s[4:5], -1, 0
	s_lshl_b64 s[10:11], s[6:7], 3
	s_add_u32 s6, s28, s10
	s_addc_u32 s7, s29, s11
	s_lshl_b64 s[12:13], s[38:39], 3
	s_lshl_b64 s[8:9], s[8:9], 3
	s_add_u32 s8, s12, s8
	s_addc_u32 s9, s13, s9
	s_add_u32 s38, s30, s8
	s_addc_u32 s39, s31, s9
	s_ashr_i32 s9, s26, 31
	s_mov_b32 s8, s26
	s_lshl_b64 s[8:9], s[8:9], 3
	s_add_u32 s12, s34, s36
	s_addc_u32 s13, s35, s37
	s_add_u32 s10, s12, s10
	s_addc_u32 s11, s13, s11
	s_add_u32 s10, s22, s10
	v_mov_b32_e32 v7, 0
	s_addc_u32 s11, s23, s11
	v_lshl_add_u64 v[2:3], s[10:11], 0, v[6:7]
	s_ashr_i32 s11, s25, 31
	s_mov_b32 s10, s25
	s_lshl_b64 s[10:11], s[10:11], 3
	s_mov_b64 s[12:13], 0x800
	s_branch .LBB3_218
.LBB3_217:                              ;   in Loop: Header=BB3_218 Depth=1
	s_or_b64 exec, exec, s[16:17]
	s_sub_i32 s2, s2, s27
	s_cmp_gt_i32 s2, -1
	s_cbranch_scc0 .LBB3_234
.LBB3_218:                              ; =>This Loop Header: Depth=1
                                        ;     Child Loop BB3_221 Depth 2
                                        ;       Child Loop BB3_224 Depth 3
                                        ;         Child Loop BB3_226 Depth 4
                                        ;     Child Loop BB3_231 Depth 2
                                        ;       Child Loop BB3_233 Depth 3
	s_lshl_b64 s[16:17], s[2:3], 3
	s_add_u32 s14, s38, s16
	s_addc_u32 s15, s39, s17
	s_sub_i32 s18, s0, s2
	s_min_i32 s34, s18, s27
	s_cmp_lt_i32 s34, 1
	s_cbranch_scc1 .LBB3_227
; %bb.219:                              ;   in Loop: Header=BB3_218 Depth=1
	s_add_i32 s35, s34, s2
	s_add_u32 s36, s28, s16
	v_lshl_add_u64 v[4:5], v[2:3], 0, s[16:17]
	s_addc_u32 s37, s29, s17
	s_mov_b64 s[16:17], s[14:15]
	s_mov_b32 s40, s2
	s_branch .LBB3_221
.LBB3_220:                              ;   in Loop: Header=BB3_221 Depth=2
	s_or_b64 exec, exec, s[18:19]
	s_add_i32 s40, s40, 1
	s_add_u32 s16, s16, 8
	s_addc_u32 s17, s17, 0
	s_cmp_lt_i32 s40, s35
	s_cbranch_scc0 .LBB3_227
.LBB3_221:                              ;   Parent Loop BB3_218 Depth=1
                                        ; =>  This Loop Header: Depth=2
                                        ;       Child Loop BB3_224 Depth 3
                                        ;         Child Loop BB3_226 Depth 4
	s_sub_i32 s41, s40, s2
	v_cmp_ge_i32_e32 vcc, s41, v0
	s_and_saveexec_b64 s[18:19], vcc
	s_cbranch_execz .LBB3_220
; %bb.222:                              ;   in Loop: Header=BB3_221 Depth=2
	s_mul_i32 s20, s40, s25
	s_ashr_i32 s21, s20, 31
	s_lshl_b64 s[20:21], s[20:21], 3
	s_add_u32 s20, s36, s20
	s_addc_u32 s21, s37, s21
	s_mov_b64 s[22:23], 0
	v_mov_b64_e32 v[8:9], v[4:5]
	v_mov_b32_e32 v6, v0
	s_branch .LBB3_224
.LBB3_223:                              ;   in Loop: Header=BB3_224 Depth=3
	v_lshl_add_u64 v[12:13], v[6:7], 3, s[20:21]
	global_load_dwordx2 v[14:15], v[12:13], off
	v_add_u32_e32 v6, 0x100, v6
	v_cmp_lt_i32_e32 vcc, s41, v6
	s_or_b64 s[22:23], vcc, s[22:23]
	v_lshl_add_u64 v[8:9], v[8:9], 0, s[12:13]
	s_waitcnt vmcnt(0)
	v_add_f64 v[10:11], v[14:15], -v[10:11]
	global_store_dwordx2 v[12:13], v[10:11], off
	s_andn2_b64 exec, exec, s[22:23]
	s_cbranch_execz .LBB3_220
.LBB3_224:                              ;   Parent Loop BB3_218 Depth=1
                                        ;     Parent Loop BB3_221 Depth=2
                                        ; =>    This Loop Header: Depth=3
                                        ;         Child Loop BB3_226 Depth 4
	v_mov_b64_e32 v[10:11], 0
	s_andn2_b64 vcc, exec, s[4:5]
	s_cbranch_vccnz .LBB3_223
; %bb.225:                              ;   in Loop: Header=BB3_224 Depth=3
	v_mov_b64_e32 v[12:13], v[8:9]
	s_mov_b64 s[30:31], s[16:17]
	s_mov_b32 s42, s1
.LBB3_226:                              ;   Parent Loop BB3_218 Depth=1
                                        ;     Parent Loop BB3_221 Depth=2
                                        ;       Parent Loop BB3_224 Depth=3
                                        ; =>      This Inner Loop Header: Depth=4
	global_load_dwordx2 v[14:15], v[12:13], off
	global_load_dwordx2 v[16:17], v7, s[30:31]
	s_add_i32 s42, s42, -1
	s_add_u32 s30, s30, s8
	s_addc_u32 s31, s31, s9
	v_lshl_add_u64 v[12:13], v[12:13], 0, s[10:11]
	s_cmp_eq_u32 s42, 0
	s_waitcnt vmcnt(0)
	v_fmac_f64_e32 v[10:11], v[14:15], v[16:17]
	s_cbranch_scc0 .LBB3_226
	s_branch .LBB3_223
.LBB3_227:                              ;   in Loop: Header=BB3_218 Depth=1
	s_mul_i32 s22, s34, s2
	v_cmp_gt_i32_e32 vcc, s22, v0
	s_and_saveexec_b64 s[16:17], vcc
	s_cbranch_execz .LBB3_217
; %bb.228:                              ;   in Loop: Header=BB3_218 Depth=1
	v_cvt_f32_u32_e32 v4, s2
	s_mul_i32 s20, s2, s25
	s_ashr_i32 s21, s20, 31
	s_lshl_b64 s[20:21], s[20:21], 3
	v_rcp_iflag_f32_e32 v4, v4
	s_add_u32 s20, s28, s20
	s_addc_u32 s21, s29, s21
	s_sub_i32 s23, 0, s2
	v_mul_f32_e32 v4, 0x4f7ffffe, v4
	v_cvt_u32_f32_e32 v4, v4
	s_mov_b64 s[18:19], 0
	v_mov_b32_e32 v15, v0
	v_mul_lo_u32 v5, s23, v4
	v_mul_hi_u32 v5, v4, v5
	v_add_u32_e32 v14, v4, v5
	s_branch .LBB3_231
.LBB3_229:                              ;   in Loop: Header=BB3_231 Depth=2
	v_mov_b64_e32 v[8:9], 0
.LBB3_230:                              ;   in Loop: Header=BB3_231 Depth=2
	v_mad_u64_u32 v[4:5], s[30:31], v4, s25, v[6:7]
	v_ashrrev_i32_e32 v5, 31, v4
	v_lshl_add_u64 v[4:5], v[4:5], 3, s[20:21]
	global_load_dwordx2 v[10:11], v[4:5], off
	v_add_u32_e32 v15, 0x100, v15
	v_cmp_le_i32_e32 vcc, s22, v15
	s_or_b64 s[18:19], vcc, s[18:19]
	s_waitcnt vmcnt(0)
	v_add_f64 v[8:9], v[10:11], -v[8:9]
	global_store_dwordx2 v[4:5], v[8:9], off
	s_andn2_b64 exec, exec, s[18:19]
	s_cbranch_execz .LBB3_217
.LBB3_231:                              ;   Parent Loop BB3_218 Depth=1
                                        ; =>  This Loop Header: Depth=2
                                        ;       Child Loop BB3_233 Depth 3
	v_mul_hi_u32 v4, v15, v14
	v_mul_lo_u32 v5, v4, s2
	v_sub_u32_e32 v5, v15, v5
	v_add_u32_e32 v6, 1, v4
	v_cmp_le_u32_e32 vcc, s2, v5
	s_nop 1
	v_cndmask_b32_e32 v4, v4, v6, vcc
	v_subrev_u32_e32 v6, s2, v5
	v_cndmask_b32_e32 v5, v5, v6, vcc
	v_add_u32_e32 v6, 1, v4
	v_cmp_le_u32_e32 vcc, s2, v5
	s_nop 1
	v_cndmask_b32_e32 v4, v4, v6, vcc
	v_mul_lo_u32 v5, v4, s2
	s_andn2_b64 vcc, exec, s[4:5]
	v_sub_u32_e32 v6, v15, v5
	s_cbranch_vccnz .LBB3_229
; %bb.232:                              ;   in Loop: Header=BB3_231 Depth=2
	v_ashrrev_i32_e32 v5, 31, v4
	v_lshl_add_u64 v[10:11], v[4:5], 3, s[14:15]
	v_mov_b64_e32 v[8:9], 0
	v_mov_b32_e32 v12, v6
	s_mov_b32 s23, s1
.LBB3_233:                              ;   Parent Loop BB3_218 Depth=1
                                        ;     Parent Loop BB3_231 Depth=2
                                        ; =>    This Inner Loop Header: Depth=3
	v_ashrrev_i32_e32 v13, 31, v12
	v_lshl_add_u64 v[18:19], v[12:13], 3, s[6:7]
	global_load_dwordx2 v[16:17], v[10:11], off
	s_add_i32 s23, s23, -1
	global_load_dwordx2 v[18:19], v[18:19], off
	v_lshl_add_u64 v[10:11], v[10:11], 0, s[8:9]
	v_add_u32_e32 v12, s25, v12
	s_cmp_eq_u32 s23, 0
	s_waitcnt vmcnt(0)
	v_fmac_f64_e32 v[8:9], v[18:19], v[16:17]
	s_cbranch_scc0 .LBB3_233
	s_branch .LBB3_230
.LBB3_234:
	s_cmp_ge_i32 s0, s64
	s_waitcnt lgkmcnt(0)
	s_barrier
	s_cbranch_scc1 .LBB3_242
; %bb.235:
	s_lshl_b32 s6, s25, 8
	v_mov_b32_e32 v2, 0
	s_branch .LBB3_238
.LBB3_236:                              ;   in Loop: Header=BB3_238 Depth=1
	s_or_b64 exec, exec, s[2:3]
	s_barrier
.LBB3_237:                              ;   in Loop: Header=BB3_238 Depth=1
	s_cmp_lt_i32 s1, s64
	s_mov_b32 s0, s1
	s_cbranch_scc0 .LBB3_242
.LBB3_238:                              ; =>This Loop Header: Depth=1
                                        ;     Child Loop BB3_241 Depth 2
	s_ashr_i32 s1, s0, 31
	s_lshl_b64 s[2:3], s[0:1], 2
	s_add_u32 s2, s24, s2
	s_addc_u32 s3, s33, s3
	global_load_dword v3, v2, s[2:3]
	s_waitcnt vmcnt(0)
	v_readfirstlane_b32 s1, v3
	s_not_b32 s2, s1
	s_add_i32 s3, s1, -1
	s_cmp_lt_i32 s1, 0
	s_cselect_b32 s7, s2, s3
	s_lshr_b32 s1, s1, 31
	s_add_i32 s4, s0, s1
	s_add_i32 s1, s4, 1
	s_cmp_eq_u32 s7, s0
	s_cselect_b64 s[2:3], -1, 0
	s_cmp_le_i32 s26, s1
	s_cselect_b64 s[8:9], -1, 0
	s_or_b64 s[2:3], s[2:3], s[8:9]
	s_and_b64 vcc, exec, s[2:3]
	s_cbranch_vccnz .LBB3_237
; %bb.239:                              ;   in Loop: Header=BB3_238 Depth=1
	s_sub_i32 s8, s26, s1
	v_cmp_gt_i32_e32 vcc, s8, v0
	s_and_saveexec_b64 s[2:3], vcc
	s_cbranch_execz .LBB3_236
; %bb.240:                              ;   in Loop: Header=BB3_238 Depth=1
	v_add_u32_e32 v3, s4, v1
	v_mul_lo_u32 v3, s25, v3
	s_mov_b64 s[4:5], 0
	v_mov_b32_e32 v4, v0
.LBB3_241:                              ;   Parent Loop BB3_238 Depth=1
                                        ; =>  This Inner Loop Header: Depth=2
	v_add_u32_e32 v8, s0, v3
	v_add_u32_e32 v6, s7, v3
	v_ashrrev_i32_e32 v9, 31, v8
	v_ashrrev_i32_e32 v7, 31, v6
	v_lshl_add_u64 v[8:9], v[8:9], 3, s[28:29]
	v_lshl_add_u64 v[6:7], v[6:7], 3, s[28:29]
	global_load_dwordx2 v[10:11], v[8:9], off
	global_load_dwordx2 v[12:13], v[6:7], off
	v_add_u32_e32 v4, 0x100, v4
	v_cmp_le_i32_e32 vcc, s8, v4
	v_add_u32_e32 v3, s6, v3
	s_or_b64 s[4:5], vcc, s[4:5]
	s_waitcnt vmcnt(1)
	global_store_dwordx2 v[6:7], v[10:11], off
	s_waitcnt vmcnt(1)
	global_store_dwordx2 v[8:9], v[12:13], off
	s_andn2_b64 exec, exec, s[4:5]
	s_cbranch_execnz .LBB3_241
	s_branch .LBB3_236
.LBB3_242:
	s_endpgm
	.section	.rodata,"a",@progbits
	.p2align	6, 0x0
	.amdhsa_kernel _ZN9rocsolver6v33100L18lasyf_kernel_upperIdPdEEviiPiT0_iilS3_lS3_PT_
		.amdhsa_group_segment_fixed_size 3104
		.amdhsa_private_segment_fixed_size 0
		.amdhsa_kernarg_size 72
		.amdhsa_user_sgpr_count 2
		.amdhsa_user_sgpr_dispatch_ptr 0
		.amdhsa_user_sgpr_queue_ptr 0
		.amdhsa_user_sgpr_kernarg_segment_ptr 1
		.amdhsa_user_sgpr_dispatch_id 0
		.amdhsa_user_sgpr_kernarg_preload_length 0
		.amdhsa_user_sgpr_kernarg_preload_offset 0
		.amdhsa_user_sgpr_private_segment_size 0
		.amdhsa_uses_dynamic_stack 0
		.amdhsa_enable_private_segment 0
		.amdhsa_system_sgpr_workgroup_id_x 1
		.amdhsa_system_sgpr_workgroup_id_y 1
		.amdhsa_system_sgpr_workgroup_id_z 0
		.amdhsa_system_sgpr_workgroup_info 0
		.amdhsa_system_vgpr_workitem_id 0
		.amdhsa_next_free_vgpr 42
		.amdhsa_next_free_sgpr 75
		.amdhsa_accum_offset 44
		.amdhsa_reserve_vcc 1
		.amdhsa_float_round_mode_32 0
		.amdhsa_float_round_mode_16_64 0
		.amdhsa_float_denorm_mode_32 3
		.amdhsa_float_denorm_mode_16_64 3
		.amdhsa_dx10_clamp 1
		.amdhsa_ieee_mode 1
		.amdhsa_fp16_overflow 0
		.amdhsa_tg_split 0
		.amdhsa_exception_fp_ieee_invalid_op 0
		.amdhsa_exception_fp_denorm_src 0
		.amdhsa_exception_fp_ieee_div_zero 0
		.amdhsa_exception_fp_ieee_overflow 0
		.amdhsa_exception_fp_ieee_underflow 0
		.amdhsa_exception_fp_ieee_inexact 0
		.amdhsa_exception_int_div_zero 0
	.end_amdhsa_kernel
	.section	.text._ZN9rocsolver6v33100L18lasyf_kernel_upperIdPdEEviiPiT0_iilS3_lS3_PT_,"axG",@progbits,_ZN9rocsolver6v33100L18lasyf_kernel_upperIdPdEEviiPiT0_iilS3_lS3_PT_,comdat
.Lfunc_end3:
	.size	_ZN9rocsolver6v33100L18lasyf_kernel_upperIdPdEEviiPiT0_iilS3_lS3_PT_, .Lfunc_end3-_ZN9rocsolver6v33100L18lasyf_kernel_upperIdPdEEviiPiT0_iilS3_lS3_PT_
                                        ; -- End function
	.set _ZN9rocsolver6v33100L18lasyf_kernel_upperIdPdEEviiPiT0_iilS3_lS3_PT_.num_vgpr, 42
	.set _ZN9rocsolver6v33100L18lasyf_kernel_upperIdPdEEviiPiT0_iilS3_lS3_PT_.num_agpr, 0
	.set _ZN9rocsolver6v33100L18lasyf_kernel_upperIdPdEEviiPiT0_iilS3_lS3_PT_.numbered_sgpr, 75
	.set _ZN9rocsolver6v33100L18lasyf_kernel_upperIdPdEEviiPiT0_iilS3_lS3_PT_.num_named_barrier, 0
	.set _ZN9rocsolver6v33100L18lasyf_kernel_upperIdPdEEviiPiT0_iilS3_lS3_PT_.private_seg_size, 0
	.set _ZN9rocsolver6v33100L18lasyf_kernel_upperIdPdEEviiPiT0_iilS3_lS3_PT_.uses_vcc, 1
	.set _ZN9rocsolver6v33100L18lasyf_kernel_upperIdPdEEviiPiT0_iilS3_lS3_PT_.uses_flat_scratch, 0
	.set _ZN9rocsolver6v33100L18lasyf_kernel_upperIdPdEEviiPiT0_iilS3_lS3_PT_.has_dyn_sized_stack, 0
	.set _ZN9rocsolver6v33100L18lasyf_kernel_upperIdPdEEviiPiT0_iilS3_lS3_PT_.has_recursion, 0
	.set _ZN9rocsolver6v33100L18lasyf_kernel_upperIdPdEEviiPiT0_iilS3_lS3_PT_.has_indirect_call, 0
	.section	.AMDGPU.csdata,"",@progbits
; Kernel info:
; codeLenInByte = 8872
; TotalNumSgprs: 81
; NumVgprs: 42
; NumAgprs: 0
; TotalNumVgprs: 42
; ScratchSize: 0
; MemoryBound: 0
; FloatMode: 240
; IeeeMode: 1
; LDSByteSize: 3104 bytes/workgroup (compile time only)
; SGPRBlocks: 10
; VGPRBlocks: 5
; NumSGPRsForWavesPerEU: 81
; NumVGPRsForWavesPerEU: 42
; AccumOffset: 44
; Occupancy: 8
; WaveLimiterHint : 1
; COMPUTE_PGM_RSRC2:SCRATCH_EN: 0
; COMPUTE_PGM_RSRC2:USER_SGPR: 2
; COMPUTE_PGM_RSRC2:TRAP_HANDLER: 0
; COMPUTE_PGM_RSRC2:TGID_X_EN: 1
; COMPUTE_PGM_RSRC2:TGID_Y_EN: 1
; COMPUTE_PGM_RSRC2:TGID_Z_EN: 0
; COMPUTE_PGM_RSRC2:TIDIG_COMP_CNT: 0
; COMPUTE_PGM_RSRC3_GFX90A:ACCUM_OFFSET: 10
; COMPUTE_PGM_RSRC3_GFX90A:TG_SPLIT: 0
	.section	.text._ZN9rocsolver6v33100L18lasyf_kernel_lowerIdPdEEviiPiT0_iilS3_lS3_PT_,"axG",@progbits,_ZN9rocsolver6v33100L18lasyf_kernel_lowerIdPdEEviiPiT0_iilS3_lS3_PT_,comdat
	.globl	_ZN9rocsolver6v33100L18lasyf_kernel_lowerIdPdEEviiPiT0_iilS3_lS3_PT_ ; -- Begin function _ZN9rocsolver6v33100L18lasyf_kernel_lowerIdPdEEviiPiT0_iilS3_lS3_PT_
	.p2align	8
	.type	_ZN9rocsolver6v33100L18lasyf_kernel_lowerIdPdEEviiPiT0_iilS3_lS3_PT_,@function
_ZN9rocsolver6v33100L18lasyf_kernel_lowerIdPdEEviiPiT0_iilS3_lS3_PT_: ; @_ZN9rocsolver6v33100L18lasyf_kernel_lowerIdPdEEviiPiT0_iilS3_lS3_PT_
; %bb.0:
	s_mov_b32 s40, s3
	v_cmp_eq_u32_e64 s[10:11], 0, v0
	s_and_saveexec_b64 s[2:3], s[10:11]
; %bb.1:
	v_mov_b32_e32 v1, 0
	ds_write_b32 v1, v1 offset:3100
; %bb.2:
	s_or_b64 exec, exec, s[2:3]
	s_load_dwordx2 s[26:27], s[0:1], 0x18
	s_load_dwordx2 s[28:29], s[0:1], 0x0
	s_load_dwordx4 s[20:23], s[0:1], 0x8
	s_load_dwordx8 s[12:19], s[0:1], 0x20
	s_load_dwordx2 s[34:35], s[0:1], 0x40
	s_ashr_i32 s41, s40, 31
	s_waitcnt lgkmcnt(0)
	s_ashr_i32 s1, s26, 31
	s_mov_b32 s0, s26
	s_mul_hi_u32 s2, s12, s40
	s_mul_i32 s3, s12, s41
	s_add_i32 s2, s2, s3
	s_mul_i32 s3, s13, s40
	s_add_i32 s3, s2, s3
	s_mul_i32 s2, s12, s40
	s_lshl_b64 s[36:37], s[2:3], 3
	s_add_u32 s2, s22, s36
	s_addc_u32 s3, s23, s37
	s_lshl_b64 s[38:39], s[0:1], 3
	s_mul_i32 s0, s28, s40
	s_add_u32 s24, s2, s38
	s_mul_i32 s0, s0, s29
	s_addc_u32 s25, s3, s39
	s_ashr_i32 s1, s0, 31
	s_lshl_b64 s[42:43], s[0:1], 3
	s_add_u32 s30, s34, s42
	s_mul_hi_u32 s0, s16, s40
	s_mul_i32 s1, s16, s41
	s_addc_u32 s31, s35, s43
	s_add_i32 s0, s0, s1
	s_mul_i32 s1, s17, s40
	s_add_i32 s1, s0, s1
	s_mul_i32 s0, s16, s40
	s_lshl_b64 s[0:1], s[0:1], 2
	s_add_u32 s14, s14, s0
	s_addc_u32 s15, s15, s1
	s_cmp_lt_i32 s28, 1
	v_lshlrev_b32_e32 v8, 3, v0
	v_mul_lo_u32 v1, v0, s27
	s_cbranch_scc1 .LBB4_242
; %bb.3:
	s_add_i32 s26, s29, -1
	s_cmp_eq_u32 s29, s28
	s_cselect_b64 s[16:17], -1, 0
	s_add_i32 s33, s28, -1
	s_add_i32 s70, s27, 1
	s_add_i32 s71, s28, -2
	s_add_i32 s72, s28, 1
	s_add_u32 s44, s34, s42
	s_movk_i32 s0, 0x80
	s_addc_u32 s45, s35, s43
	v_cmp_gt_u32_e64 s[2:3], s0, v0
	s_add_u32 s0, s36, s38
	s_addc_u32 s1, s37, s39
	s_add_u32 s46, s22, s0
	s_addc_u32 s47, s23, s1
	s_mov_b32 s1, 0
	s_mov_b32 s0, s28
	s_lshl_b64 s[48:49], s[0:1], 3
	v_mov_b32_e32 v13, 0
	s_ashr_i32 s1, s27, 31
	s_mov_b32 s0, s27
	v_mov_b32_e32 v9, v13
	s_lshl_b64 s[50:51], s[0:1], 3
	s_lshl_b32 s0, s28, 8
	v_mov_b32_e32 v2, 0x800
	v_add_u32_e32 v10, 2, v0
	v_lshl_add_u64 v[16:17], s[44:45], 0, v[8:9]
	v_mul_lo_u32 v20, v0, s28
	s_ashr_i32 s1, s0, 31
	s_mov_b32 s58, 0x66afed07
	v_lshl_or_b32 v11, v0, 2, v2
	v_cmp_gt_u32_e64 s[4:5], 64, v0
	v_lshl_add_u64 v[14:15], s[46:47], 0, v[8:9]
	v_lshl_add_u64 v[18:19], v[16:17], 0, 8
	s_lshl_b32 s73, s27, 8
	v_mul_lo_u32 v9, v0, s27
	v_ashrrev_i32_e32 v21, 31, v20
	s_lshl_b64 s[52:53], s[0:1], 3
	v_add_u32_e32 v38, s27, v10
	s_mov_b64 s[54:55], 0
	s_mov_b64 s[56:57], 0x800
	s_brev_b32 s74, -2
	s_mov_b32 s59, 0x3fe47e0f
	v_mov_b32_e32 v6, v13
                                        ; implicit-def: $sgpr60_sgpr61
	s_branch .LBB4_6
.LBB4_4:                                ;   in Loop: Header=BB4_6 Depth=1
	s_or_b64 exec, exec, s[0:1]
	v_add_u32_e32 v6, v5, v6
	v_cmp_le_i32_e32 vcc, s28, v6
	s_andn2_b64 s[0:1], s[60:61], exec
	s_and_b64 s[6:7], vcc, exec
	s_or_b64 s[60:61], s[0:1], s[6:7]
.LBB4_5:                                ;   in Loop: Header=BB4_6 Depth=1
	s_or_b64 exec, exec, s[62:63]
	s_and_b64 s[0:1], exec, s[60:61]
	s_or_b64 s[54:55], s[0:1], s[54:55]
	s_andn2_b64 exec, exec, s[54:55]
	s_cbranch_execz .LBB4_210
.LBB4_6:                                ; =>This Loop Header: Depth=1
                                        ;     Child Loop BB4_11 Depth 2
                                        ;     Child Loop BB4_16 Depth 2
                                        ;       Child Loop BB4_18 Depth 3
                                        ;     Child Loop BB4_22 Depth 2
                                        ;     Child Loop BB4_64 Depth 2
	;; [unrolled: 1-line block ×4, first 2 shown]
                                        ;       Child Loop BB4_76 Depth 3
                                        ;     Child Loop BB4_81 Depth 2
                                        ;     Child Loop BB4_122 Depth 2
	;; [unrolled: 1-line block ×9, first 2 shown]
	v_cmp_gt_i32_e32 vcc, s26, v6
	s_or_b64 s[0:1], s[16:17], vcc
	s_or_b64 s[60:61], s[60:61], exec
	s_and_saveexec_b64 s[62:63], s[0:1]
	s_cbranch_execz .LBB4_5
; %bb.7:                                ;   in Loop: Header=BB4_6 Depth=1
	v_sub_u32_e32 v41, s28, v6
	v_cmp_lt_i32_e64 s[8:9], v0, v41
	v_cmp_ge_i32_e32 vcc, v0, v41
	v_mul_lo_u32 v24, v6, s28
	s_and_saveexec_b64 s[0:1], vcc
	s_xor_b64 s[0:1], exec, s[0:1]
; %bb.8:                                ;   in Loop: Header=BB4_6 Depth=1
	v_mul_lo_u32 v24, v6, s28
; %bb.9:                                ;   in Loop: Header=BB4_6 Depth=1
	s_andn2_saveexec_b64 s[0:1], s[0:1]
	s_cbranch_execz .LBB4_13
; %bb.10:                               ;   in Loop: Header=BB4_6 Depth=1
	s_waitcnt vmcnt(0)
	v_mad_u64_u32 v[2:3], s[6:7], s72, v6, v[0:1]
	v_mad_u64_u32 v[4:5], s[6:7], s70, v6, v[0:1]
	v_mov_b32_e32 v3, v13
	v_ashrrev_i32_e32 v5, 31, v4
	v_lshl_add_u64 v[2:3], v[2:3], 3, s[44:45]
	v_lshl_add_u64 v[4:5], v[4:5], 3, s[46:47]
	s_mov_b64 s[6:7], 0
	v_mov_b32_e32 v7, v0
.LBB4_11:                               ;   Parent Loop BB4_6 Depth=1
                                        ; =>  This Inner Loop Header: Depth=2
	global_load_dwordx2 v[22:23], v[4:5], off
	v_add_u32_e32 v7, 0x100, v7
	v_cmp_ge_i32_e32 vcc, v7, v41
	v_lshl_add_u64 v[4:5], v[4:5], 0, s[56:57]
	s_or_b64 s[6:7], vcc, s[6:7]
	s_waitcnt vmcnt(0)
	global_store_dwordx2 v[2:3], v[22:23], off
	v_lshl_add_u64 v[2:3], v[2:3], 0, s[56:57]
	s_andn2_b64 exec, exec, s[6:7]
	s_cbranch_execnz .LBB4_11
; %bb.12:                               ;   in Loop: Header=BB4_6 Depth=1
	s_or_b64 exec, exec, s[6:7]
.LBB4_13:                               ;   in Loop: Header=BB4_6 Depth=1
	s_or_b64 exec, exec, s[0:1]
	v_mov_b32_e32 v7, v13
	v_lshl_add_u64 v[26:27], v[6:7], 3, s[30:31]
	v_ashrrev_i32_e32 v25, 31, v24
	v_lshl_add_u64 v[22:23], v[24:25], 3, v[26:27]
	s_barrier
	s_and_saveexec_b64 s[6:7], s[8:9]
	s_cbranch_execz .LBB4_20
; %bb.14:                               ;   in Loop: Header=BB4_6 Depth=1
	v_cmp_ne_u32_e32 vcc, 0, v6
	s_waitcnt vmcnt(0)
	v_lshl_add_u64 v[2:3], v[6:7], 3, v[14:15]
	s_mov_b64 s[12:13], 0
	v_mov_b32_e32 v12, v0
	s_branch .LBB4_16
.LBB4_15:                               ;   in Loop: Header=BB4_16 Depth=2
	s_or_b64 exec, exec, s[64:65]
	v_lshl_add_u64 v[28:29], v[12:13], 3, v[22:23]
	global_load_dwordx2 v[30:31], v[28:29], off
	v_add_u32_e32 v12, 0x100, v12
	v_cmp_ge_i32_e64 s[0:1], v12, v41
	s_or_b64 s[12:13], s[0:1], s[12:13]
	v_lshl_add_u64 v[2:3], v[2:3], 0, s[56:57]
	s_waitcnt vmcnt(0)
	v_add_f64 v[4:5], v[30:31], -v[4:5]
	global_store_dwordx2 v[28:29], v[4:5], off
	s_andn2_b64 exec, exec, s[12:13]
	s_cbranch_execz .LBB4_20
.LBB4_16:                               ;   Parent Loop BB4_6 Depth=1
                                        ; =>  This Loop Header: Depth=2
                                        ;       Child Loop BB4_18 Depth 3
	v_mov_b64_e32 v[4:5], 0
	s_and_saveexec_b64 s[64:65], vcc
	s_cbranch_execz .LBB4_15
; %bb.17:                               ;   in Loop: Header=BB4_16 Depth=2
	v_mov_b64_e32 v[4:5], 0
	s_mov_b64 s[66:67], 0
	v_mov_b64_e32 v[28:29], v[2:3]
	v_mov_b64_e32 v[30:31], v[26:27]
	v_mov_b32_e32 v32, v6
.LBB4_18:                               ;   Parent Loop BB4_6 Depth=1
                                        ;     Parent Loop BB4_16 Depth=2
                                        ; =>    This Inner Loop Header: Depth=3
	global_load_dwordx2 v[34:35], v[28:29], off
	global_load_dwordx2 v[36:37], v[30:31], off
	v_add_u32_e32 v32, -1, v32
	v_cmp_eq_u32_e64 s[0:1], 0, v32
	v_lshl_add_u64 v[30:31], v[30:31], 0, s[48:49]
	v_lshl_add_u64 v[28:29], v[28:29], 0, s[50:51]
	s_or_b64 s[66:67], s[0:1], s[66:67]
	s_waitcnt vmcnt(0)
	v_fmac_f64_e32 v[4:5], v[34:35], v[36:37]
	s_andn2_b64 exec, exec, s[66:67]
	s_cbranch_execnz .LBB4_18
; %bb.19:                               ;   in Loop: Header=BB4_16 Depth=2
	s_or_b64 exec, exec, s[66:67]
	s_branch .LBB4_15
.LBB4_20:                               ;   in Loop: Header=BB4_6 Depth=1
	s_or_b64 exec, exec, s[6:7]
	v_add_u32_e32 v39, -1, v41
	v_cmp_lt_i32_e64 s[6:7], v0, v39
	s_waitcnt vmcnt(0)
	v_mov_b64_e32 v[2:3], 0
	v_bfrev_b32_e32 v12, -2
	s_barrier
	s_and_saveexec_b64 s[12:13], s[6:7]
	s_cbranch_execz .LBB4_24
; %bb.21:                               ;   in Loop: Header=BB4_6 Depth=1
	v_lshlrev_b64 v[2:3], 3, v[6:7]
	v_lshl_add_u64 v[2:3], v[24:25], 3, v[2:3]
	v_lshl_add_u64 v[4:5], v[18:19], 0, v[2:3]
	v_mov_b64_e32 v[2:3], 0
	v_bfrev_b32_e32 v12, -2
	s_mov_b64 s[64:65], 0
	v_mov_b32_e32 v28, v0
.LBB4_22:                               ;   Parent Loop BB4_6 Depth=1
                                        ; =>  This Inner Loop Header: Depth=2
	global_load_dwordx2 v[30:31], v[4:5], off
	v_cmp_eq_u32_e32 vcc, s74, v12
	v_add_u32_e32 v29, 1, v28
	v_add_u32_e32 v28, 0x100, v28
	v_cmp_ge_i32_e64 s[0:1], v28, v39
	v_lshl_add_u64 v[4:5], v[4:5], 0, s[56:57]
	s_waitcnt vmcnt(0)
	v_cmp_lt_f64_e64 s[66:67], v[2:3], |v[30:31]|
	v_and_b32_e32 v32, 0x7fffffff, v31
	s_or_b64 vcc, s[66:67], vcc
	v_cndmask_b32_e32 v3, v3, v32, vcc
	v_cndmask_b32_e32 v2, v2, v30, vcc
	s_or_b64 s[64:65], s[0:1], s[64:65]
	v_cndmask_b32_e32 v12, v12, v29, vcc
	s_andn2_b64 exec, exec, s[64:65]
	s_cbranch_execnz .LBB4_22
; %bb.23:                               ;   in Loop: Header=BB4_6 Depth=1
	s_or_b64 exec, exec, s[64:65]
.LBB4_24:                               ;   in Loop: Header=BB4_6 Depth=1
	s_or_b64 exec, exec, s[12:13]
	v_cmp_lt_i32_e32 vcc, 2, v41
	ds_write_b64 v8, v[2:3]
	ds_write_b32 v11, v12
	s_waitcnt lgkmcnt(0)
	s_barrier
	s_and_saveexec_b64 s[64:65], vcc
	s_cbranch_execz .LBB4_58
; %bb.25:                               ;   in Loop: Header=BB4_6 Depth=1
	s_and_saveexec_b64 s[12:13], s[2:3]
	s_cbranch_execz .LBB4_31
; %bb.26:                               ;   in Loop: Header=BB4_6 Depth=1
	ds_read_b64 v[4:5], v8 offset:1024
	ds_read_b32 v28, v11 offset:512
	s_waitcnt lgkmcnt(1)
	v_cmp_lt_f64_e64 s[66:67], v[2:3], v[4:5]
	v_cmp_nlt_f64_e32 vcc, v[2:3], v[4:5]
	s_and_saveexec_b64 s[68:69], vcc
	s_cbranch_execz .LBB4_28
; %bb.27:                               ;   in Loop: Header=BB4_6 Depth=1
	v_cmp_eq_f64_e32 vcc, v[2:3], v[4:5]
	s_waitcnt lgkmcnt(0)
	v_cmp_gt_i32_e64 s[0:1], v12, v28
	s_and_b64 s[0:1], vcc, s[0:1]
	s_andn2_b64 s[66:67], s[66:67], exec
	s_and_b64 s[0:1], s[0:1], exec
	s_or_b64 s[66:67], s[66:67], s[0:1]
.LBB4_28:                               ;   in Loop: Header=BB4_6 Depth=1
	s_or_b64 exec, exec, s[68:69]
	s_and_saveexec_b64 s[0:1], s[66:67]
	s_cbranch_execz .LBB4_30
; %bb.29:                               ;   in Loop: Header=BB4_6 Depth=1
	s_waitcnt lgkmcnt(0)
	v_mov_b32_e32 v12, v28
	v_mov_b64_e32 v[2:3], v[4:5]
	ds_write_b64 v8, v[4:5]
	ds_write_b32 v11, v28
.LBB4_30:                               ;   in Loop: Header=BB4_6 Depth=1
	s_or_b64 exec, exec, s[0:1]
.LBB4_31:                               ;   in Loop: Header=BB4_6 Depth=1
	s_or_b64 exec, exec, s[12:13]
	s_waitcnt lgkmcnt(0)
	s_barrier
	s_and_b64 exec, exec, s[4:5]
	s_cbranch_execz .LBB4_58
; %bb.32:                               ;   in Loop: Header=BB4_6 Depth=1
	ds_read_b64 v[4:5], v8 offset:512
	ds_read_b32 v28, v11 offset:256
	s_waitcnt lgkmcnt(1)
	v_cmp_lt_f64_e64 s[12:13], v[2:3], v[4:5]
	v_cmp_nlt_f64_e32 vcc, v[2:3], v[4:5]
	s_and_saveexec_b64 s[66:67], vcc
	s_cbranch_execz .LBB4_34
; %bb.33:                               ;   in Loop: Header=BB4_6 Depth=1
	v_cmp_eq_f64_e32 vcc, v[2:3], v[4:5]
	s_waitcnt lgkmcnt(0)
	v_cmp_gt_i32_e64 s[0:1], v12, v28
	s_and_b64 s[0:1], vcc, s[0:1]
	s_andn2_b64 s[12:13], s[12:13], exec
	s_and_b64 s[0:1], s[0:1], exec
	s_or_b64 s[12:13], s[12:13], s[0:1]
.LBB4_34:                               ;   in Loop: Header=BB4_6 Depth=1
	s_or_b64 exec, exec, s[66:67]
	s_and_saveexec_b64 s[0:1], s[12:13]
	s_cbranch_execz .LBB4_36
; %bb.35:                               ;   in Loop: Header=BB4_6 Depth=1
	v_mov_b64_e32 v[2:3], v[4:5]
	s_waitcnt lgkmcnt(0)
	v_mov_b32_e32 v12, v28
	ds_write_b64 v8, v[4:5]
	ds_write_b32 v11, v28
.LBB4_36:                               ;   in Loop: Header=BB4_6 Depth=1
	s_or_b64 exec, exec, s[0:1]
	ds_read_b64 v[4:5], v8 offset:256
	s_waitcnt lgkmcnt(1)
	ds_read_b32 v28, v11 offset:128
	s_waitcnt lgkmcnt(1)
	v_cmp_lt_f64_e64 s[12:13], v[2:3], v[4:5]
	v_cmp_nlt_f64_e32 vcc, v[2:3], v[4:5]
	s_and_saveexec_b64 s[66:67], vcc
	s_cbranch_execz .LBB4_38
; %bb.37:                               ;   in Loop: Header=BB4_6 Depth=1
	v_cmp_eq_f64_e32 vcc, v[2:3], v[4:5]
	s_waitcnt lgkmcnt(0)
	v_cmp_gt_i32_e64 s[0:1], v12, v28
	s_and_b64 s[0:1], vcc, s[0:1]
	s_andn2_b64 s[12:13], s[12:13], exec
	s_and_b64 s[0:1], s[0:1], exec
	s_or_b64 s[12:13], s[12:13], s[0:1]
.LBB4_38:                               ;   in Loop: Header=BB4_6 Depth=1
	s_or_b64 exec, exec, s[66:67]
	s_and_saveexec_b64 s[0:1], s[12:13]
	s_cbranch_execz .LBB4_40
; %bb.39:                               ;   in Loop: Header=BB4_6 Depth=1
	v_mov_b64_e32 v[2:3], v[4:5]
	s_waitcnt lgkmcnt(0)
	v_mov_b32_e32 v12, v28
	ds_write_b64 v8, v[4:5]
	ds_write_b32 v11, v28
.LBB4_40:                               ;   in Loop: Header=BB4_6 Depth=1
	s_or_b64 exec, exec, s[0:1]
	ds_read_b64 v[4:5], v8 offset:128
	s_waitcnt lgkmcnt(1)
	;; [unrolled: 28-line block ×6, first 2 shown]
	ds_read_b32 v28, v11 offset:4
	s_waitcnt lgkmcnt(1)
	v_cmp_eq_f64_e64 s[0:1], v[2:3], v[4:5]
	s_waitcnt lgkmcnt(0)
	v_cmp_gt_i32_e64 s[12:13], v12, v28
	v_cmp_lt_f64_e32 vcc, v[2:3], v[4:5]
	s_and_b64 s[0:1], s[0:1], s[12:13]
	s_or_b64 s[0:1], vcc, s[0:1]
	s_and_b64 exec, exec, s[0:1]
	s_cbranch_execz .LBB4_58
; %bb.57:                               ;   in Loop: Header=BB4_6 Depth=1
	ds_write_b64 v8, v[4:5]
	ds_write_b32 v11, v28
.LBB4_58:                               ;   in Loop: Header=BB4_6 Depth=1
	s_or_b64 exec, exec, s[64:65]
	s_and_saveexec_b64 s[0:1], s[10:11]
	s_cbranch_execz .LBB4_60
; %bb.59:                               ;   in Loop: Header=BB4_6 Depth=1
	global_load_dwordx2 v[2:3], v[22:23], off
	ds_read_b32 v12, v13 offset:2048
	ds_read_b64 v[4:5], v13
	s_waitcnt lgkmcnt(1)
	v_add_u32_e32 v12, v12, v6
	ds_write_b32 v13, v12 offset:3096
	s_waitcnt vmcnt(0)
	v_and_b32_e32 v3, 0x7fffffff, v3
	s_waitcnt lgkmcnt(1)
	ds_write_b128 v13, v[2:5] offset:3072
.LBB4_60:                               ;   in Loop: Header=BB4_6 Depth=1
	s_or_b64 exec, exec, s[0:1]
	s_waitcnt lgkmcnt(0)
	s_barrier
	ds_read_b128 v[2:5], v13 offset:3072
	v_add_u32_e32 v40, 1, v6
	s_waitcnt lgkmcnt(0)
	v_cmp_lt_f64_e32 vcc, v[2:3], v[4:5]
	s_nop 1
	v_cndmask_b32_e32 v29, v3, v5, vcc
	v_cndmask_b32_e32 v28, v2, v4, vcc
	v_cmp_neq_f64_e32 vcc, 0, v[28:29]
	s_cbranch_vccz .LBB4_78
; %bb.61:                               ;   in Loop: Header=BB4_6 Depth=1
	v_mul_f64 v[4:5], v[4:5], s[58:59]
	v_cmp_ge_f64_e32 vcc, v[2:3], v[4:5]
	s_cbranch_vccnz .LBB4_169
; %bb.62:                               ;   in Loop: Header=BB4_6 Depth=1
	ds_read_b32 v12, v13 offset:3096
	s_waitcnt lgkmcnt(0)
	v_sub_u32_e32 v28, v12, v6
	v_cmp_lt_i32_e32 vcc, v0, v28
	s_and_saveexec_b64 s[0:1], vcc
	s_cbranch_execz .LBB4_65
; %bb.63:                               ;   in Loop: Header=BB4_6 Depth=1
	v_add_u32_e32 v4, v0, v6
	v_mad_u64_u32 v[2:3], s[12:13], v40, s28, v[4:5]
	v_mov_b32_e32 v3, v13
	v_mul_lo_u32 v4, s27, v4
	v_lshl_add_u64 v[2:3], v[2:3], 3, s[44:45]
	v_add_u32_e32 v4, v12, v4
	s_mov_b64 s[12:13], 0
	v_mov_b32_e32 v29, v0
.LBB4_64:                               ;   Parent Loop BB4_6 Depth=1
                                        ; =>  This Inner Loop Header: Depth=2
	v_ashrrev_i32_e32 v5, 31, v4
	v_lshl_add_u64 v[30:31], v[4:5], 3, s[24:25]
	global_load_dwordx2 v[30:31], v[30:31], off
	v_add_u32_e32 v29, 0x100, v29
	v_cmp_ge_i32_e32 vcc, v29, v28
	v_add_u32_e32 v4, s73, v4
	s_or_b64 s[12:13], vcc, s[12:13]
	s_waitcnt vmcnt(0)
	global_store_dwordx2 v[2:3], v[30:31], off
	v_lshl_add_u64 v[2:3], v[2:3], 0, s[56:57]
	s_andn2_b64 exec, exec, s[12:13]
	s_cbranch_execnz .LBB4_64
.LBB4_65:                               ;   in Loop: Header=BB4_6 Depth=1
	s_or_b64 exec, exec, s[0:1]
	v_sub_u32_e32 v3, s28, v12
	v_cmp_ge_i32_e32 vcc, v0, v3
                                        ; implicit-def: $vgpr2
	s_and_saveexec_b64 s[0:1], vcc
	s_xor_b64 s[0:1], exec, s[0:1]
; %bb.66:                               ;   in Loop: Header=BB4_6 Depth=1
	v_mul_lo_u32 v2, v40, s28
                                        ; implicit-def: $vgpr3
                                        ; implicit-def: $vgpr12
; %bb.67:                               ;   in Loop: Header=BB4_6 Depth=1
	s_andn2_saveexec_b64 s[0:1], s[0:1]
	s_cbranch_execz .LBB4_71
; %bb.68:                               ;   in Loop: Header=BB4_6 Depth=1
	v_mul_lo_u32 v2, v40, s28
	v_add3_u32 v4, v0, v12, v2
	v_mul_lo_u32 v12, s70, v12
	v_add_u32_e32 v28, v0, v12
	v_ashrrev_i32_e32 v5, 31, v4
	v_ashrrev_i32_e32 v29, 31, v28
	v_lshl_add_u64 v[4:5], v[4:5], 3, s[44:45]
	v_lshl_add_u64 v[28:29], v[28:29], 3, s[46:47]
	s_mov_b64 s[12:13], 0
	v_mov_b32_e32 v12, v0
.LBB4_69:                               ;   Parent Loop BB4_6 Depth=1
                                        ; =>  This Inner Loop Header: Depth=2
	global_load_dwordx2 v[30:31], v[28:29], off
	v_add_u32_e32 v12, 0x100, v12
	v_cmp_ge_i32_e32 vcc, v12, v3
	v_lshl_add_u64 v[28:29], v[28:29], 0, s[56:57]
	s_or_b64 s[12:13], vcc, s[12:13]
	s_waitcnt vmcnt(0)
	global_store_dwordx2 v[4:5], v[30:31], off
	v_lshl_add_u64 v[4:5], v[4:5], 0, s[56:57]
	s_andn2_b64 exec, exec, s[12:13]
	s_cbranch_execnz .LBB4_69
; %bb.70:                               ;   in Loop: Header=BB4_6 Depth=1
	s_or_b64 exec, exec, s[12:13]
.LBB4_71:                               ;   in Loop: Header=BB4_6 Depth=1
	s_or_b64 exec, exec, s[0:1]
	v_ashrrev_i32_e32 v3, 31, v2
	s_barrier
	s_and_saveexec_b64 s[12:13], s[8:9]
	s_cbranch_execz .LBB4_79
; %bb.72:                               ;   in Loop: Header=BB4_6 Depth=1
	ds_read_b32 v30, v13 offset:3096
	v_lshl_add_u64 v[4:5], v[2:3], 3, v[26:27]
	v_cmp_ne_u32_e32 vcc, 0, v6
	v_lshl_add_u64 v[28:29], v[6:7], 3, v[14:15]
	s_mov_b64 s[64:65], 0
	s_waitcnt lgkmcnt(0)
	v_ashrrev_i32_e32 v31, 31, v30
	v_lshlrev_b64 v[30:31], 3, v[30:31]
	v_lshl_add_u64 v[30:31], s[30:31], 0, v[30:31]
	v_mov_b32_e32 v12, v0
	s_branch .LBB4_74
.LBB4_73:                               ;   in Loop: Header=BB4_74 Depth=2
	s_or_b64 exec, exec, s[66:67]
	v_lshl_add_u64 v[34:35], v[12:13], 3, v[4:5]
	global_load_dwordx2 v[36:37], v[34:35], off
	v_add_u32_e32 v12, 0x100, v12
	v_cmp_ge_i32_e64 s[0:1], v12, v41
	s_or_b64 s[64:65], s[0:1], s[64:65]
	v_lshl_add_u64 v[28:29], v[28:29], 0, s[56:57]
	s_waitcnt vmcnt(0)
	v_add_f64 v[32:33], v[36:37], -v[32:33]
	global_store_dwordx2 v[34:35], v[32:33], off
	s_andn2_b64 exec, exec, s[64:65]
	s_cbranch_execz .LBB4_79
.LBB4_74:                               ;   Parent Loop BB4_6 Depth=1
                                        ; =>  This Loop Header: Depth=2
                                        ;       Child Loop BB4_76 Depth 3
	v_mov_b64_e32 v[32:33], 0
	s_and_saveexec_b64 s[66:67], vcc
	s_cbranch_execz .LBB4_73
; %bb.75:                               ;   in Loop: Header=BB4_74 Depth=2
	v_mov_b64_e32 v[32:33], 0
	s_mov_b64 s[68:69], 0
	v_mov_b64_e32 v[34:35], v[28:29]
	v_mov_b64_e32 v[36:37], v[30:31]
	v_mov_b32_e32 v42, v6
.LBB4_76:                               ;   Parent Loop BB4_6 Depth=1
                                        ;     Parent Loop BB4_74 Depth=2
                                        ; =>    This Inner Loop Header: Depth=3
	global_load_dwordx2 v[44:45], v[34:35], off
	global_load_dwordx2 v[46:47], v[36:37], off
	v_add_u32_e32 v42, -1, v42
	v_cmp_eq_u32_e64 s[0:1], 0, v42
	v_lshl_add_u64 v[36:37], v[36:37], 0, s[48:49]
	v_lshl_add_u64 v[34:35], v[34:35], 0, s[50:51]
	s_or_b64 s[68:69], s[0:1], s[68:69]
	s_waitcnt vmcnt(0)
	v_fmac_f64_e32 v[32:33], v[44:45], v[46:47]
	s_andn2_b64 exec, exec, s[68:69]
	s_cbranch_execnz .LBB4_76
; %bb.77:                               ;   in Loop: Header=BB4_74 Depth=2
	s_or_b64 exec, exec, s[68:69]
	s_branch .LBB4_73
.LBB4_78:                               ;   in Loop: Header=BB4_6 Depth=1
                                        ; implicit-def: $sgpr12_sgpr13
                                        ; implicit-def: $vgpr4
                                        ; implicit-def: $vgpr5
	s_cbranch_execnz .LBB4_202
	s_branch .LBB4_205
.LBB4_79:                               ;   in Loop: Header=BB4_6 Depth=1
	s_or_b64 exec, exec, s[12:13]
	s_barrier
	ds_read_b32 v4, v13 offset:3096
	v_bfrev_b32_e32 v12, -2
	s_waitcnt lgkmcnt(0)
	v_sub_u32_e32 v30, v4, v6
	v_cmp_lt_i32_e32 vcc, v0, v30
	v_mov_b64_e32 v[4:5], 0
	s_and_saveexec_b64 s[12:13], vcc
	s_cbranch_execz .LBB4_83
; %bb.80:                               ;   in Loop: Header=BB4_6 Depth=1
	v_lshlrev_b64 v[4:5], 3, v[6:7]
	v_lshl_add_u64 v[4:5], v[2:3], 3, v[4:5]
	v_lshl_add_u64 v[28:29], v[16:17], 0, v[4:5]
	v_mov_b64_e32 v[4:5], 0
	v_bfrev_b32_e32 v12, -2
	s_mov_b64 s[64:65], 0
	v_mov_b32_e32 v31, v0
.LBB4_81:                               ;   Parent Loop BB4_6 Depth=1
                                        ; =>  This Inner Loop Header: Depth=2
	global_load_dwordx2 v[32:33], v[28:29], off
	v_cmp_eq_u32_e32 vcc, s74, v12
	v_add_u32_e32 v34, 1, v31
	v_add_u32_e32 v31, 0x100, v31
	v_cmp_ge_i32_e64 s[0:1], v31, v30
	v_lshl_add_u64 v[28:29], v[28:29], 0, s[56:57]
	s_waitcnt vmcnt(0)
	v_cmp_lt_f64_e64 s[66:67], v[4:5], |v[32:33]|
	v_and_b32_e32 v35, 0x7fffffff, v33
	s_or_b64 vcc, s[66:67], vcc
	v_cndmask_b32_e32 v5, v5, v35, vcc
	v_cndmask_b32_e32 v4, v4, v32, vcc
	s_or_b64 s[64:65], s[0:1], s[64:65]
	v_cndmask_b32_e32 v12, v12, v34, vcc
	s_andn2_b64 exec, exec, s[64:65]
	s_cbranch_execnz .LBB4_81
; %bb.82:                               ;   in Loop: Header=BB4_6 Depth=1
	s_or_b64 exec, exec, s[64:65]
.LBB4_83:                               ;   in Loop: Header=BB4_6 Depth=1
	s_or_b64 exec, exec, s[12:13]
	v_cmp_lt_i32_e32 vcc, 1, v30
	ds_write_b64 v8, v[4:5]
	ds_write_b32 v11, v12
	s_waitcnt lgkmcnt(0)
	s_barrier
	s_and_saveexec_b64 s[64:65], vcc
	s_cbranch_execz .LBB4_117
; %bb.84:                               ;   in Loop: Header=BB4_6 Depth=1
	s_and_saveexec_b64 s[12:13], s[2:3]
	s_cbranch_execz .LBB4_90
; %bb.85:                               ;   in Loop: Header=BB4_6 Depth=1
	ds_read_b64 v[28:29], v8 offset:1024
	ds_read_b32 v30, v11 offset:512
	s_waitcnt lgkmcnt(1)
	v_cmp_lt_f64_e64 s[66:67], v[4:5], v[28:29]
	v_cmp_nlt_f64_e32 vcc, v[4:5], v[28:29]
	s_and_saveexec_b64 s[68:69], vcc
	s_cbranch_execz .LBB4_87
; %bb.86:                               ;   in Loop: Header=BB4_6 Depth=1
	v_cmp_eq_f64_e32 vcc, v[4:5], v[28:29]
	s_waitcnt lgkmcnt(0)
	v_cmp_gt_i32_e64 s[0:1], v12, v30
	s_and_b64 s[0:1], vcc, s[0:1]
	s_andn2_b64 s[66:67], s[66:67], exec
	s_and_b64 s[0:1], s[0:1], exec
	s_or_b64 s[66:67], s[66:67], s[0:1]
.LBB4_87:                               ;   in Loop: Header=BB4_6 Depth=1
	s_or_b64 exec, exec, s[68:69]
	s_and_saveexec_b64 s[0:1], s[66:67]
	s_cbranch_execz .LBB4_89
; %bb.88:                               ;   in Loop: Header=BB4_6 Depth=1
	s_waitcnt lgkmcnt(0)
	v_mov_b32_e32 v12, v30
	v_mov_b64_e32 v[4:5], v[28:29]
	ds_write_b64 v8, v[28:29]
	ds_write_b32 v11, v30
.LBB4_89:                               ;   in Loop: Header=BB4_6 Depth=1
	s_or_b64 exec, exec, s[0:1]
.LBB4_90:                               ;   in Loop: Header=BB4_6 Depth=1
	s_or_b64 exec, exec, s[12:13]
	s_waitcnt lgkmcnt(0)
	s_barrier
	s_and_b64 exec, exec, s[4:5]
	s_cbranch_execz .LBB4_117
; %bb.91:                               ;   in Loop: Header=BB4_6 Depth=1
	ds_read_b64 v[28:29], v8 offset:512
	ds_read_b32 v30, v11 offset:256
	s_waitcnt lgkmcnt(1)
	v_cmp_lt_f64_e64 s[12:13], v[4:5], v[28:29]
	v_cmp_nlt_f64_e32 vcc, v[4:5], v[28:29]
	s_and_saveexec_b64 s[66:67], vcc
	s_cbranch_execz .LBB4_93
; %bb.92:                               ;   in Loop: Header=BB4_6 Depth=1
	v_cmp_eq_f64_e32 vcc, v[4:5], v[28:29]
	s_waitcnt lgkmcnt(0)
	v_cmp_gt_i32_e64 s[0:1], v12, v30
	s_and_b64 s[0:1], vcc, s[0:1]
	s_andn2_b64 s[12:13], s[12:13], exec
	s_and_b64 s[0:1], s[0:1], exec
	s_or_b64 s[12:13], s[12:13], s[0:1]
.LBB4_93:                               ;   in Loop: Header=BB4_6 Depth=1
	s_or_b64 exec, exec, s[66:67]
	s_and_saveexec_b64 s[0:1], s[12:13]
	s_cbranch_execz .LBB4_95
; %bb.94:                               ;   in Loop: Header=BB4_6 Depth=1
	v_mov_b64_e32 v[4:5], v[28:29]
	s_waitcnt lgkmcnt(0)
	v_mov_b32_e32 v12, v30
	ds_write_b64 v8, v[28:29]
	ds_write_b32 v11, v30
.LBB4_95:                               ;   in Loop: Header=BB4_6 Depth=1
	s_or_b64 exec, exec, s[0:1]
	ds_read_b64 v[28:29], v8 offset:256
	s_waitcnt lgkmcnt(1)
	ds_read_b32 v30, v11 offset:128
	s_waitcnt lgkmcnt(1)
	v_cmp_lt_f64_e64 s[12:13], v[4:5], v[28:29]
	v_cmp_nlt_f64_e32 vcc, v[4:5], v[28:29]
	s_and_saveexec_b64 s[66:67], vcc
	s_cbranch_execz .LBB4_97
; %bb.96:                               ;   in Loop: Header=BB4_6 Depth=1
	v_cmp_eq_f64_e32 vcc, v[4:5], v[28:29]
	s_waitcnt lgkmcnt(0)
	v_cmp_gt_i32_e64 s[0:1], v12, v30
	s_and_b64 s[0:1], vcc, s[0:1]
	s_andn2_b64 s[12:13], s[12:13], exec
	s_and_b64 s[0:1], s[0:1], exec
	s_or_b64 s[12:13], s[12:13], s[0:1]
.LBB4_97:                               ;   in Loop: Header=BB4_6 Depth=1
	s_or_b64 exec, exec, s[66:67]
	s_and_saveexec_b64 s[0:1], s[12:13]
	s_cbranch_execz .LBB4_99
; %bb.98:                               ;   in Loop: Header=BB4_6 Depth=1
	v_mov_b64_e32 v[4:5], v[28:29]
	s_waitcnt lgkmcnt(0)
	v_mov_b32_e32 v12, v30
	ds_write_b64 v8, v[28:29]
	ds_write_b32 v11, v30
.LBB4_99:                               ;   in Loop: Header=BB4_6 Depth=1
	s_or_b64 exec, exec, s[0:1]
	ds_read_b64 v[28:29], v8 offset:128
	s_waitcnt lgkmcnt(1)
	ds_read_b32 v30, v11 offset:64
	s_waitcnt lgkmcnt(1)
	v_cmp_lt_f64_e64 s[12:13], v[4:5], v[28:29]
	v_cmp_nlt_f64_e32 vcc, v[4:5], v[28:29]
	s_and_saveexec_b64 s[66:67], vcc
	s_cbranch_execz .LBB4_101
; %bb.100:                              ;   in Loop: Header=BB4_6 Depth=1
	v_cmp_eq_f64_e32 vcc, v[4:5], v[28:29]
	s_waitcnt lgkmcnt(0)
	v_cmp_gt_i32_e64 s[0:1], v12, v30
	s_and_b64 s[0:1], vcc, s[0:1]
	s_andn2_b64 s[12:13], s[12:13], exec
	s_and_b64 s[0:1], s[0:1], exec
	s_or_b64 s[12:13], s[12:13], s[0:1]
.LBB4_101:                              ;   in Loop: Header=BB4_6 Depth=1
	s_or_b64 exec, exec, s[66:67]
	s_and_saveexec_b64 s[0:1], s[12:13]
	s_cbranch_execz .LBB4_103
; %bb.102:                              ;   in Loop: Header=BB4_6 Depth=1
	v_mov_b64_e32 v[4:5], v[28:29]
	s_waitcnt lgkmcnt(0)
	v_mov_b32_e32 v12, v30
	ds_write_b64 v8, v[28:29]
	ds_write_b32 v11, v30
.LBB4_103:                              ;   in Loop: Header=BB4_6 Depth=1
	s_or_b64 exec, exec, s[0:1]
	ds_read_b64 v[28:29], v8 offset:64
	s_waitcnt lgkmcnt(1)
	ds_read_b32 v30, v11 offset:32
	s_waitcnt lgkmcnt(1)
	v_cmp_lt_f64_e64 s[12:13], v[4:5], v[28:29]
	v_cmp_nlt_f64_e32 vcc, v[4:5], v[28:29]
	s_and_saveexec_b64 s[66:67], vcc
	s_cbranch_execz .LBB4_105
; %bb.104:                              ;   in Loop: Header=BB4_6 Depth=1
	v_cmp_eq_f64_e32 vcc, v[4:5], v[28:29]
	s_waitcnt lgkmcnt(0)
	v_cmp_gt_i32_e64 s[0:1], v12, v30
	s_and_b64 s[0:1], vcc, s[0:1]
	s_andn2_b64 s[12:13], s[12:13], exec
	s_and_b64 s[0:1], s[0:1], exec
	s_or_b64 s[12:13], s[12:13], s[0:1]
.LBB4_105:                              ;   in Loop: Header=BB4_6 Depth=1
	s_or_b64 exec, exec, s[66:67]
	s_and_saveexec_b64 s[0:1], s[12:13]
	s_cbranch_execz .LBB4_107
; %bb.106:                              ;   in Loop: Header=BB4_6 Depth=1
	v_mov_b64_e32 v[4:5], v[28:29]
	s_waitcnt lgkmcnt(0)
	v_mov_b32_e32 v12, v30
	ds_write_b64 v8, v[28:29]
	ds_write_b32 v11, v30
.LBB4_107:                              ;   in Loop: Header=BB4_6 Depth=1
	;; [unrolled: 28-line block ×4, first 2 shown]
	s_or_b64 exec, exec, s[0:1]
	ds_read_b64 v[28:29], v8 offset:8
	s_waitcnt lgkmcnt(1)
	ds_read_b32 v30, v11 offset:4
	s_waitcnt lgkmcnt(1)
	v_cmp_eq_f64_e64 s[0:1], v[4:5], v[28:29]
	s_waitcnt lgkmcnt(0)
	v_cmp_gt_i32_e64 s[12:13], v12, v30
	v_cmp_lt_f64_e32 vcc, v[4:5], v[28:29]
	s_and_b64 s[0:1], s[0:1], s[12:13]
	s_or_b64 s[0:1], vcc, s[0:1]
	s_and_b64 exec, exec, s[0:1]
	s_cbranch_execz .LBB4_117
; %bb.116:                              ;   in Loop: Header=BB4_6 Depth=1
	ds_write_b64 v8, v[28:29]
	ds_write_b32 v11, v30
.LBB4_117:                              ;   in Loop: Header=BB4_6 Depth=1
	s_or_b64 exec, exec, s[64:65]
	s_and_saveexec_b64 s[0:1], s[10:11]
	s_cbranch_execz .LBB4_119
; %bb.118:                              ;   in Loop: Header=BB4_6 Depth=1
	ds_read_b64 v[4:5], v13
	s_waitcnt lgkmcnt(0)
	ds_write_b64 v13, v[4:5] offset:3088
.LBB4_119:                              ;   in Loop: Header=BB4_6 Depth=1
	s_or_b64 exec, exec, s[0:1]
	ds_read_b32 v4, v13 offset:3096
	s_waitcnt lgkmcnt(0)
	v_cmp_le_i32_e32 vcc, s33, v4
	v_readfirstlane_b32 s0, v4
	s_cbranch_vccnz .LBB4_162
; %bb.120:                              ;   in Loop: Header=BB4_6 Depth=1
	s_not_b32 s1, s0
	s_add_i32 s66, s28, s1
	v_cmp_gt_i32_e32 vcc, s66, v0
	v_mov_b64_e32 v[4:5], 0
	v_bfrev_b32_e32 v12, -2
	s_and_saveexec_b64 s[12:13], vcc
	s_cbranch_execz .LBB4_124
; %bb.121:                              ;   in Loop: Header=BB4_6 Depth=1
	s_ashr_i32 s1, s0, 31
	v_lshlrev_b64 v[4:5], 3, v[2:3]
	v_lshl_add_u64 v[4:5], s[0:1], 3, v[4:5]
	v_lshl_add_u64 v[28:29], v[18:19], 0, v[4:5]
	v_mov_b64_e32 v[4:5], 0
	v_bfrev_b32_e32 v12, -2
	s_mov_b64 s[64:65], 0
	v_mov_b32_e32 v3, v0
.LBB4_122:                              ;   Parent Loop BB4_6 Depth=1
                                        ; =>  This Inner Loop Header: Depth=2
	global_load_dwordx2 v[30:31], v[28:29], off
	v_cmp_eq_u32_e32 vcc, s74, v12
	v_add_u32_e32 v32, 1, v3
	v_add_u32_e32 v3, 0x100, v3
	v_cmp_le_i32_e64 s[0:1], s66, v3
	v_lshl_add_u64 v[28:29], v[28:29], 0, s[56:57]
	s_waitcnt vmcnt(0)
	v_cmp_lt_f64_e64 s[68:69], v[4:5], |v[30:31]|
	v_and_b32_e32 v33, 0x7fffffff, v31
	s_or_b64 vcc, s[68:69], vcc
	v_cndmask_b32_e32 v5, v5, v33, vcc
	v_cndmask_b32_e32 v4, v4, v30, vcc
	s_or_b64 s[64:65], s[0:1], s[64:65]
	v_cndmask_b32_e32 v12, v12, v32, vcc
	s_andn2_b64 exec, exec, s[64:65]
	s_cbranch_execnz .LBB4_122
; %bb.123:                              ;   in Loop: Header=BB4_6 Depth=1
	s_or_b64 exec, exec, s[64:65]
.LBB4_124:                              ;   in Loop: Header=BB4_6 Depth=1
	s_or_b64 exec, exec, s[12:13]
	s_cmp_lt_i32 s66, 2
	ds_write_b64 v8, v[4:5]
	ds_write_b32 v11, v12
	s_waitcnt lgkmcnt(0)
	s_barrier
	s_cbranch_scc1 .LBB4_159
; %bb.125:                              ;   in Loop: Header=BB4_6 Depth=1
	s_and_saveexec_b64 s[12:13], s[2:3]
	s_cbranch_execz .LBB4_131
; %bb.126:                              ;   in Loop: Header=BB4_6 Depth=1
	ds_read_b64 v[28:29], v8 offset:1024
	ds_read_b32 v3, v11 offset:512
	s_waitcnt lgkmcnt(1)
	v_cmp_lt_f64_e64 s[64:65], v[4:5], v[28:29]
	v_cmp_nlt_f64_e32 vcc, v[4:5], v[28:29]
	s_and_saveexec_b64 s[66:67], vcc
	s_cbranch_execz .LBB4_128
; %bb.127:                              ;   in Loop: Header=BB4_6 Depth=1
	v_cmp_eq_f64_e32 vcc, v[4:5], v[28:29]
	s_waitcnt lgkmcnt(0)
	v_cmp_gt_i32_e64 s[0:1], v12, v3
	s_and_b64 s[0:1], vcc, s[0:1]
	s_andn2_b64 s[64:65], s[64:65], exec
	s_and_b64 s[0:1], s[0:1], exec
	s_or_b64 s[64:65], s[64:65], s[0:1]
.LBB4_128:                              ;   in Loop: Header=BB4_6 Depth=1
	s_or_b64 exec, exec, s[66:67]
	s_and_saveexec_b64 s[0:1], s[64:65]
	s_cbranch_execz .LBB4_130
; %bb.129:                              ;   in Loop: Header=BB4_6 Depth=1
	s_waitcnt lgkmcnt(0)
	v_mov_b32_e32 v12, v3
	v_mov_b64_e32 v[4:5], v[28:29]
	ds_write_b64 v8, v[28:29]
	ds_write_b32 v11, v3
.LBB4_130:                              ;   in Loop: Header=BB4_6 Depth=1
	s_or_b64 exec, exec, s[0:1]
.LBB4_131:                              ;   in Loop: Header=BB4_6 Depth=1
	s_or_b64 exec, exec, s[12:13]
	s_waitcnt lgkmcnt(0)
	s_barrier
	s_and_saveexec_b64 s[64:65], s[4:5]
	s_cbranch_execz .LBB4_158
; %bb.132:                              ;   in Loop: Header=BB4_6 Depth=1
	ds_read_b64 v[28:29], v8 offset:512
	ds_read_b32 v3, v11 offset:256
	s_waitcnt lgkmcnt(1)
	v_cmp_lt_f64_e64 s[12:13], v[4:5], v[28:29]
	v_cmp_nlt_f64_e32 vcc, v[4:5], v[28:29]
	s_and_saveexec_b64 s[66:67], vcc
	s_cbranch_execz .LBB4_134
; %bb.133:                              ;   in Loop: Header=BB4_6 Depth=1
	v_cmp_eq_f64_e32 vcc, v[4:5], v[28:29]
	s_waitcnt lgkmcnt(0)
	v_cmp_gt_i32_e64 s[0:1], v12, v3
	s_and_b64 s[0:1], vcc, s[0:1]
	s_andn2_b64 s[12:13], s[12:13], exec
	s_and_b64 s[0:1], s[0:1], exec
	s_or_b64 s[12:13], s[12:13], s[0:1]
.LBB4_134:                              ;   in Loop: Header=BB4_6 Depth=1
	s_or_b64 exec, exec, s[66:67]
	s_and_saveexec_b64 s[0:1], s[12:13]
	s_cbranch_execz .LBB4_136
; %bb.135:                              ;   in Loop: Header=BB4_6 Depth=1
	v_mov_b64_e32 v[4:5], v[28:29]
	s_waitcnt lgkmcnt(0)
	v_mov_b32_e32 v12, v3
	ds_write_b64 v8, v[28:29]
	ds_write_b32 v11, v3
.LBB4_136:                              ;   in Loop: Header=BB4_6 Depth=1
	s_or_b64 exec, exec, s[0:1]
	ds_read_b64 v[28:29], v8 offset:256
	s_waitcnt lgkmcnt(1)
	ds_read_b32 v3, v11 offset:128
	s_waitcnt lgkmcnt(1)
	v_cmp_lt_f64_e64 s[12:13], v[4:5], v[28:29]
	v_cmp_nlt_f64_e32 vcc, v[4:5], v[28:29]
	s_and_saveexec_b64 s[66:67], vcc
	s_cbranch_execz .LBB4_138
; %bb.137:                              ;   in Loop: Header=BB4_6 Depth=1
	v_cmp_eq_f64_e32 vcc, v[4:5], v[28:29]
	s_waitcnt lgkmcnt(0)
	v_cmp_gt_i32_e64 s[0:1], v12, v3
	s_and_b64 s[0:1], vcc, s[0:1]
	s_andn2_b64 s[12:13], s[12:13], exec
	s_and_b64 s[0:1], s[0:1], exec
	s_or_b64 s[12:13], s[12:13], s[0:1]
.LBB4_138:                              ;   in Loop: Header=BB4_6 Depth=1
	s_or_b64 exec, exec, s[66:67]
	s_and_saveexec_b64 s[0:1], s[12:13]
	s_cbranch_execz .LBB4_140
; %bb.139:                              ;   in Loop: Header=BB4_6 Depth=1
	v_mov_b64_e32 v[4:5], v[28:29]
	s_waitcnt lgkmcnt(0)
	v_mov_b32_e32 v12, v3
	ds_write_b64 v8, v[28:29]
	ds_write_b32 v11, v3
.LBB4_140:                              ;   in Loop: Header=BB4_6 Depth=1
	s_or_b64 exec, exec, s[0:1]
	ds_read_b64 v[28:29], v8 offset:128
	s_waitcnt lgkmcnt(1)
	;; [unrolled: 28-line block ×6, first 2 shown]
	ds_read_b32 v3, v11 offset:4
	s_waitcnt lgkmcnt(1)
	v_cmp_eq_f64_e64 s[0:1], v[4:5], v[28:29]
	s_waitcnt lgkmcnt(0)
	v_cmp_gt_i32_e64 s[12:13], v12, v3
	v_cmp_lt_f64_e32 vcc, v[4:5], v[28:29]
	s_and_b64 s[0:1], s[0:1], s[12:13]
	s_or_b64 s[0:1], vcc, s[0:1]
	s_and_b64 exec, exec, s[0:1]
	s_cbranch_execz .LBB4_158
; %bb.157:                              ;   in Loop: Header=BB4_6 Depth=1
	ds_write_b64 v8, v[28:29]
	ds_write_b32 v11, v3
.LBB4_158:                              ;   in Loop: Header=BB4_6 Depth=1
	s_or_b64 exec, exec, s[64:65]
.LBB4_159:                              ;   in Loop: Header=BB4_6 Depth=1
	s_and_saveexec_b64 s[0:1], s[10:11]
	s_cbranch_execz .LBB4_161
; %bb.160:                              ;   in Loop: Header=BB4_6 Depth=1
	ds_read_b64 v[4:5], v13 offset:3088
	ds_read_b64 v[28:29], v13
	s_waitcnt lgkmcnt(0)
	v_cmp_lt_f64_e32 vcc, v[4:5], v[28:29]
	s_nop 1
	v_cndmask_b32_e32 v5, v5, v29, vcc
	v_cndmask_b32_e32 v4, v4, v28, vcc
	ds_write_b64 v13, v[4:5] offset:3088
.LBB4_161:                              ;   in Loop: Header=BB4_6 Depth=1
	s_or_b64 exec, exec, s[0:1]
.LBB4_162:                              ;   in Loop: Header=BB4_6 Depth=1
	s_waitcnt lgkmcnt(0)
	s_barrier
	ds_read_b128 v[30:33], v13 offset:3072
	ds_read_b64 v[28:29], v13 offset:3088
	s_waitcnt lgkmcnt(1)
	v_mul_f64 v[36:37], v[32:33], s[58:59]
	s_waitcnt lgkmcnt(0)
	v_div_scale_f64 v[4:5], s[0:1], v[28:29], v[28:29], v[32:33]
	v_rcp_f64_e32 v[34:35], v[4:5]
	s_nop 0
	v_fma_f64 v[42:43], -v[4:5], v[34:35], 1.0
	v_fmac_f64_e32 v[34:35], v[34:35], v[42:43]
	v_fma_f64 v[42:43], -v[4:5], v[34:35], 1.0
	v_fmac_f64_e32 v[34:35], v[34:35], v[42:43]
	v_div_scale_f64 v[42:43], vcc, v[32:33], v[28:29], v[32:33]
	v_mul_f64 v[44:45], v[42:43], v[34:35]
	v_fma_f64 v[4:5], -v[4:5], v[44:45], v[42:43]
	s_nop 1
	v_div_fmas_f64 v[4:5], v[4:5], v[34:35], v[44:45]
	v_div_fixup_f64 v[4:5], v[4:5], v[28:29], v[32:33]
	v_mul_f64 v[4:5], v[36:37], v[4:5]
	v_cmp_ge_f64_e32 vcc, v[30:31], v[4:5]
	s_cbranch_vccnz .LBB4_169
; %bb.163:                              ;   in Loop: Header=BB4_6 Depth=1
	ds_read_b32 v4, v13 offset:3096
	v_mul_f64 v[28:29], v[28:29], s[58:59]
	s_mov_b64 s[0:1], 0
	v_mov_b32_e32 v12, 2
	s_waitcnt lgkmcnt(0)
	v_add_u32_e32 v30, v4, v2
	v_ashrrev_i32_e32 v31, 31, v30
	v_lshl_add_u64 v[30:31], v[30:31], 3, s[30:31]
	global_load_dwordx2 v[30:31], v[30:31], off
	s_waitcnt vmcnt(0)
	v_cmp_ge_f64_e64 s[64:65], |v[30:31]|, v[28:29]
	s_and_saveexec_b64 s[12:13], s[64:65]
	s_cbranch_execz .LBB4_168
; %bb.164:                              ;   in Loop: Header=BB4_6 Depth=1
	s_and_saveexec_b64 s[0:1], s[8:9]
	s_cbranch_execz .LBB4_167
; %bb.165:                              ;   in Loop: Header=BB4_6 Depth=1
	v_mad_u64_u32 v[28:29], s[8:9], s72, v6, v[0:1]
	v_add3_u32 v2, v0, v6, v2
	v_ashrrev_i32_e32 v29, 31, v28
	v_ashrrev_i32_e32 v3, 31, v2
	v_lshl_add_u64 v[28:29], v[28:29], 3, s[44:45]
	v_lshl_add_u64 v[2:3], v[2:3], 3, s[44:45]
	s_mov_b64 s[8:9], 0
	v_mov_b32_e32 v5, v0
.LBB4_166:                              ;   Parent Loop BB4_6 Depth=1
                                        ; =>  This Inner Loop Header: Depth=2
	global_load_dwordx2 v[30:31], v[2:3], off
	v_add_u32_e32 v5, 0x100, v5
	v_cmp_ge_i32_e32 vcc, v5, v41
	v_lshl_add_u64 v[2:3], v[2:3], 0, s[56:57]
	s_or_b64 s[8:9], vcc, s[8:9]
	s_waitcnt vmcnt(0)
	global_store_dwordx2 v[28:29], v[30:31], off
	v_lshl_add_u64 v[28:29], v[28:29], 0, s[56:57]
	s_andn2_b64 exec, exec, s[8:9]
	s_cbranch_execnz .LBB4_166
.LBB4_167:                              ;   in Loop: Header=BB4_6 Depth=1
	s_or_b64 exec, exec, s[0:1]
	s_mov_b64 s[0:1], exec
	v_mov_b32_e32 v12, 1
	s_barrier
.LBB4_168:                              ;   in Loop: Header=BB4_6 Depth=1
	s_or_b64 exec, exec, s[12:13]
	s_branch .LBB4_170
.LBB4_169:                              ;   in Loop: Header=BB4_6 Depth=1
	s_mov_b64 s[0:1], -1
	v_mov_b32_e32 v12, 1
	v_mov_b32_e32 v4, v6
.LBB4_170:                              ;   in Loop: Header=BB4_6 Depth=1
	v_add_u32_e32 v2, v12, v6
	v_add_u32_e32 v3, -1, v2
	v_cmp_ne_u32_e32 vcc, v4, v3
	s_and_saveexec_b64 s[8:9], vcc
	s_cbranch_execz .LBB4_186
; %bb.171:                              ;   in Loop: Header=BB4_6 Depth=1
	s_and_saveexec_b64 s[12:13], s[10:11]
	s_cbranch_execz .LBB4_173
; %bb.172:                              ;   in Loop: Header=BB4_6 Depth=1
	v_mul_lo_u32 v28, v3, s70
	v_ashrrev_i32_e32 v29, 31, v28
	v_lshl_add_u64 v[28:29], v[28:29], 3, s[24:25]
	global_load_dwordx2 v[28:29], v[28:29], off
	v_mul_lo_u32 v30, v4, s70
	v_ashrrev_i32_e32 v31, 31, v30
	v_lshl_add_u64 v[30:31], v[30:31], 3, s[24:25]
	s_waitcnt vmcnt(0)
	global_store_dwordx2 v[30:31], v[28:29], off
.LBB4_173:                              ;   in Loop: Header=BB4_6 Depth=1
	s_or_b64 exec, exec, s[12:13]
	v_sub_u32_e32 v5, v4, v2
	v_cmp_lt_i32_e32 vcc, v0, v5
	s_and_saveexec_b64 s[12:13], vcc
	s_cbranch_execz .LBB4_176
; %bb.174:                              ;   in Loop: Header=BB4_6 Depth=1
	v_add3_u32 v28, v0, v12, v6
	v_mad_u64_u32 v[28:29], s[64:65], s27, v28, v[4:5]
	v_mad_u64_u32 v[30:31], s[64:65], v3, s27, v[2:3]
	s_mov_b64 s[64:65], 0
	v_mov_b32_e32 v31, v0
.LBB4_175:                              ;   Parent Loop BB4_6 Depth=1
                                        ; =>  This Inner Loop Header: Depth=2
	v_add_u32_e32 v32, v30, v31
	v_ashrrev_i32_e32 v33, 31, v32
	v_lshl_add_u64 v[32:33], v[32:33], 3, s[24:25]
	global_load_dwordx2 v[32:33], v[32:33], off
	v_add_u32_e32 v31, 0x100, v31
	v_ashrrev_i32_e32 v29, 31, v28
	v_cmp_ge_i32_e32 vcc, v31, v5
	v_lshl_add_u64 v[34:35], v[28:29], 3, s[24:25]
	v_add_u32_e32 v28, s73, v28
	s_or_b64 s[64:65], vcc, s[64:65]
	s_waitcnt vmcnt(0)
	global_store_dwordx2 v[34:35], v[32:33], off
	s_andn2_b64 exec, exec, s[64:65]
	s_cbranch_execnz .LBB4_175
.LBB4_176:                              ;   in Loop: Header=BB4_6 Depth=1
	s_or_b64 exec, exec, s[12:13]
	v_xad_u32 v5, v4, -1, s28
	v_cmp_lt_i32_e32 vcc, v0, v5
	s_and_saveexec_b64 s[12:13], vcc
	s_cbranch_execz .LBB4_179
; %bb.177:                              ;   in Loop: Header=BB4_6 Depth=1
	v_mul_lo_u32 v3, v3, s27
	v_mad_u64_u32 v[28:29], s[64:65], s70, v4, 1
	v_add3_u32 v3, v4, v3, 1
	s_mov_b64 s[64:65], 0
	v_mov_b32_e32 v29, v0
.LBB4_178:                              ;   Parent Loop BB4_6 Depth=1
                                        ; =>  This Inner Loop Header: Depth=2
	v_add_u32_e32 v30, v3, v29
	v_ashrrev_i32_e32 v31, 31, v30
	v_lshl_add_u64 v[30:31], v[30:31], 3, s[24:25]
	global_load_dwordx2 v[30:31], v[30:31], off
	v_add_u32_e32 v32, v28, v29
	v_add_u32_e32 v29, 0x100, v29
	v_ashrrev_i32_e32 v33, 31, v32
	v_cmp_ge_i32_e32 vcc, v29, v5
	v_lshl_add_u64 v[32:33], v[32:33], 3, s[24:25]
	s_or_b64 s[64:65], vcc, s[64:65]
	s_waitcnt vmcnt(0)
	global_store_dwordx2 v[32:33], v[30:31], off
	s_andn2_b64 exec, exec, s[64:65]
	s_cbranch_execnz .LBB4_178
.LBB4_179:                              ;   in Loop: Header=BB4_6 Depth=1
	s_or_b64 exec, exec, s[12:13]
	v_cmp_lt_u32_e32 vcc, v0, v6
	s_barrier
	s_and_saveexec_b64 s[12:13], vcc
	s_cbranch_execz .LBB4_182
; %bb.180:                              ;   in Loop: Header=BB4_6 Depth=1
	v_ashrrev_i32_e32 v3, 31, v2
	s_mov_b64 s[64:65], 0
	v_mov_b32_e32 v28, v9
	v_mov_b32_e32 v5, v0
.LBB4_181:                              ;   Parent Loop BB4_6 Depth=1
                                        ; =>  This Inner Loop Header: Depth=2
	v_add_u32_e32 v32, v4, v28
	v_ashrrev_i32_e32 v29, 31, v28
	v_ashrrev_i32_e32 v33, 31, v32
	v_lshl_add_u64 v[30:31], v[28:29], 0, v[2:3]
	v_lshl_add_u64 v[32:33], v[32:33], 3, s[24:25]
	;; [unrolled: 1-line block ×3, first 2 shown]
	global_load_dwordx2 v[34:35], v[32:33], off
	global_load_dwordx2 v[36:37], v[30:31], off offset:-8
	v_add_u32_e32 v5, 0x100, v5
	v_cmp_ge_u32_e32 vcc, v5, v6
	s_or_b64 s[64:65], vcc, s[64:65]
	v_add_u32_e32 v28, s73, v28
	s_waitcnt vmcnt(1)
	global_store_dwordx2 v[30:31], v[34:35], off offset:-8
	s_waitcnt vmcnt(1)
	global_store_dwordx2 v[32:33], v[36:37], off
	s_andn2_b64 exec, exec, s[64:65]
	s_cbranch_execnz .LBB4_181
.LBB4_182:                              ;   in Loop: Header=BB4_6 Depth=1
	s_or_b64 exec, exec, s[12:13]
	v_cmp_lt_u32_e32 vcc, v0, v2
	s_and_b64 exec, exec, vcc
	s_cbranch_execz .LBB4_185
; %bb.183:                              ;   in Loop: Header=BB4_6 Depth=1
	v_lshl_add_u64 v[28:29], v[20:21], 0, v[12:13]
	v_add_u32_e32 v30, v20, v4
	v_lshl_add_u64 v[28:29], v[28:29], 0, v[6:7]
	v_ashrrev_i32_e32 v31, 31, v30
	v_lshl_add_u64 v[28:29], v[28:29], 3, -8
	v_lshlrev_b64 v[30:31], 3, v[30:31]
	s_mov_b64 s[12:13], 0
	s_mov_b64 s[64:65], s[30:31]
	v_mov_b32_e32 v3, v0
.LBB4_184:                              ;   Parent Loop BB4_6 Depth=1
                                        ; =>  This Inner Loop Header: Depth=2
	v_lshl_add_u64 v[34:35], s[64:65], 0, v[30:31]
	v_lshl_add_u64 v[32:33], s[64:65], 0, v[28:29]
	global_load_dwordx2 v[36:37], v[34:35], off
	global_load_dwordx2 v[42:43], v[32:33], off
	v_add_u32_e32 v3, 0x100, v3
	s_add_u32 s64, s64, s52
	s_addc_u32 s65, s65, s53
	v_cmp_ge_u32_e32 vcc, v3, v2
	s_or_b64 s[12:13], vcc, s[12:13]
	s_waitcnt vmcnt(1)
	global_store_dwordx2 v[32:33], v[36:37], off
	s_waitcnt vmcnt(1)
	global_store_dwordx2 v[34:35], v[42:43], off
	s_andn2_b64 exec, exec, s[12:13]
	s_cbranch_execnz .LBB4_184
.LBB4_185:                              ;   in Loop: Header=BB4_6 Depth=1
	s_barrier
.LBB4_186:                              ;   in Loop: Header=BB4_6 Depth=1
	s_or_b64 exec, exec, s[8:9]
	s_xor_b64 s[0:1], s[0:1], -1
	s_and_saveexec_b64 s[8:9], s[0:1]
	s_xor_b64 s[8:9], exec, s[8:9]
	s_cbranch_execz .LBB4_194
; %bb.187:                              ;   in Loop: Header=BB4_6 Depth=1
	v_cmp_gt_i32_e32 vcc, s71, v6
	s_and_saveexec_b64 s[12:13], vcc
	s_cbranch_execz .LBB4_191
; %bb.188:                              ;   in Loop: Header=BB4_6 Depth=1
	v_add_u32_e32 v5, v6, v10
	v_cmp_gt_i32_e32 vcc, s28, v5
	s_and_b64 exec, exec, vcc
	s_cbranch_execz .LBB4_191
; %bb.189:                              ;   in Loop: Header=BB4_6 Depth=1
	v_mul_lo_u32 v12, v40, s28
	global_load_dwordx4 v[30:33], v[22:23], off
	v_lshl_add_u64 v[2:3], v[12:13], 3, v[26:27]
	global_load_dwordx2 v[28:29], v[2:3], off offset:8
	v_mad_u64_u32 v[26:27], s[0:1], s72, v6, v[10:11]
	v_mul_lo_u32 v3, s70, v6
	v_add_u32_e32 v34, v10, v3
	v_ashrrev_i32_e32 v35, 31, v34
	v_add_u32_e32 v12, v5, v12
	v_ashrrev_i32_e32 v27, 31, v26
	v_add_u32_e32 v2, v38, v3
	v_lshl_add_u64 v[24:25], v[12:13], 3, s[44:45]
	v_lshl_add_u64 v[26:27], v[26:27], 3, s[44:45]
	s_waitcnt vmcnt(1)
	v_div_scale_f64 v[36:37], s[0:1], v[32:33], v[32:33], v[30:31]
	v_rcp_f64_e32 v[44:45], v[36:37]
	s_waitcnt vmcnt(0)
	v_div_scale_f64 v[46:47], s[64:65], v[32:33], v[32:33], v[28:29]
	v_rcp_f64_e32 v[48:49], v[46:47]
	v_fma_f64 v[52:53], -v[36:37], v[44:45], 1.0
	v_fmac_f64_e32 v[44:45], v[44:45], v[52:53]
	v_fma_f64 v[54:55], -v[36:37], v[44:45], 1.0
	v_fma_f64 v[52:53], -v[46:47], v[48:49], 1.0
	v_fmac_f64_e32 v[48:49], v[48:49], v[52:53]
	v_div_scale_f64 v[42:43], s[0:1], v[30:31], v[32:33], v[30:31]
	v_fmac_f64_e32 v[44:45], v[44:45], v[54:55]
	v_fma_f64 v[52:53], -v[46:47], v[48:49], 1.0
	v_div_scale_f64 v[50:51], vcc, v[28:29], v[32:33], v[28:29]
	v_mul_f64 v[54:55], v[42:43], v[44:45]
	v_fmac_f64_e32 v[48:49], v[48:49], v[52:53]
	v_fma_f64 v[36:37], -v[36:37], v[54:55], v[42:43]
	v_mul_f64 v[42:43], v[50:51], v[48:49]
	v_fma_f64 v[46:47], -v[46:47], v[42:43], v[50:51]
	v_div_fmas_f64 v[42:43], v[46:47], v[48:49], v[42:43]
	s_mov_b64 vcc, s[0:1]
	v_div_fmas_f64 v[36:37], v[36:37], v[44:45], v[54:55]
	v_div_fixup_f64 v[28:29], v[42:43], v[32:33], v[28:29]
	v_div_fixup_f64 v[30:31], v[36:37], v[32:33], v[30:31]
	v_fma_f64 v[36:37], v[28:29], v[30:31], -1.0
	v_mul_f64 v[36:37], v[32:33], v[36:37]
	v_div_scale_f64 v[42:43], s[0:1], v[36:37], v[36:37], 1.0
	v_rcp_f64_e32 v[44:45], v[42:43]
	v_lshl_add_u64 v[32:33], v[34:35], 3, s[46:47]
	v_div_scale_f64 v[34:35], vcc, 1.0, v[36:37], 1.0
	v_fma_f64 v[46:47], -v[42:43], v[44:45], 1.0
	v_fmac_f64_e32 v[44:45], v[44:45], v[46:47]
	v_fma_f64 v[46:47], -v[42:43], v[44:45], 1.0
	v_fmac_f64_e32 v[44:45], v[44:45], v[46:47]
	v_mul_f64 v[46:47], v[34:35], v[44:45]
	v_fma_f64 v[34:35], -v[42:43], v[46:47], v[34:35]
	v_div_fmas_f64 v[34:35], v[34:35], v[44:45], v[46:47]
	v_div_fixup_f64 v[34:35], v[34:35], v[36:37], 1.0
	s_mov_b64 s[0:1], 0
.LBB4_190:                              ;   Parent Loop BB4_6 Depth=1
                                        ; =>  This Inner Loop Header: Depth=2
	global_load_dwordx2 v[36:37], v[26:27], off
	global_load_dwordx2 v[42:43], v[24:25], off
	v_add_u32_e32 v5, 0x100, v5
	v_ashrrev_i32_e32 v3, 31, v2
	v_cmp_le_i32_e32 vcc, s28, v5
	v_lshl_add_u64 v[44:45], v[2:3], 3, s[24:25]
	v_add_u32_e32 v2, 0x100, v2
	s_or_b64 s[0:1], vcc, s[0:1]
	s_waitcnt vmcnt(0)
	v_fma_f64 v[36:37], v[28:29], v[36:37], -v[42:43]
	v_mul_f64 v[36:37], v[34:35], v[36:37]
	global_store_dwordx2 v[32:33], v[36:37], off
	global_load_dwordx2 v[36:37], v[24:25], off
	s_nop 0
	global_load_dwordx2 v[42:43], v[26:27], off
	v_lshl_add_u64 v[32:33], v[32:33], 0, s[56:57]
	v_lshl_add_u64 v[24:25], v[24:25], 0, s[56:57]
	;; [unrolled: 1-line block ×3, first 2 shown]
	s_waitcnt vmcnt(0)
	v_fma_f64 v[36:37], v[30:31], v[36:37], -v[42:43]
	v_mul_f64 v[36:37], v[34:35], v[36:37]
	global_store_dwordx2 v[44:45], v[36:37], off
	s_andn2_b64 exec, exec, s[0:1]
	s_cbranch_execnz .LBB4_190
.LBB4_191:                              ;   in Loop: Header=BB4_6 Depth=1
	s_or_b64 exec, exec, s[12:13]
	s_and_saveexec_b64 s[0:1], s[10:11]
	s_cbranch_execz .LBB4_193
; %bb.192:                              ;   in Loop: Header=BB4_6 Depth=1
	global_load_dwordx2 v[2:3], v[22:23], off
	v_mul_lo_u32 v26, v6, s27
	v_lshl_add_u64 v[24:25], v[6:7], 3, s[24:25]
	v_ashrrev_i32_e32 v27, 31, v26
	v_lshl_add_u64 v[24:25], v[26:27], 3, v[24:25]
	s_waitcnt vmcnt(0)
	global_store_dwordx2 v[24:25], v[2:3], off
	global_load_dwordx2 v[2:3], v[22:23], off offset:8
	v_mul_lo_u32 v22, v40, s72
	v_ashrrev_i32_e32 v23, 31, v22
	s_waitcnt vmcnt(0)
	global_store_dwordx2 v[24:25], v[2:3], off offset:8
	v_lshl_add_u64 v[2:3], v[22:23], 3, s[30:31]
	global_load_dwordx2 v[2:3], v[2:3], off
	v_mul_lo_u32 v22, v40, s70
	v_ashrrev_i32_e32 v23, 31, v22
	v_lshl_add_u64 v[22:23], v[22:23], 3, s[24:25]
	s_waitcnt vmcnt(0)
	global_store_dwordx2 v[22:23], v[2:3], off
.LBB4_193:                              ;   in Loop: Header=BB4_6 Depth=1
	s_or_b64 exec, exec, s[0:1]
	s_barrier
                                        ; implicit-def: $vgpr22_vgpr23
                                        ; implicit-def: $vgpr24_vgpr25
                                        ; implicit-def: $vgpr39
.LBB4_194:                              ;   in Loop: Header=BB4_6 Depth=1
	s_or_saveexec_b64 s[8:9], s[8:9]
	s_mov_b64 s[0:1], 0
	v_mov_b32_e32 v5, 2
	s_mov_b64 s[12:13], 0
	s_xor_b64 exec, exec, s[8:9]
	s_cbranch_execz .LBB4_201
; %bb.195:                              ;   in Loop: Header=BB4_6 Depth=1
	global_load_dwordx2 v[2:3], v[22:23], off
	s_and_saveexec_b64 s[12:13], s[10:11]
	s_cbranch_execz .LBB4_197
; %bb.196:                              ;   in Loop: Header=BB4_6 Depth=1
	v_mul_lo_u32 v22, v6, s70
	v_ashrrev_i32_e32 v23, 31, v22
	v_lshl_add_u64 v[22:23], v[22:23], 3, s[24:25]
	s_waitcnt vmcnt(0)
	global_store_dwordx2 v[22:23], v[2:3], off
.LBB4_197:                              ;   in Loop: Header=BB4_6 Depth=1
	s_or_b64 exec, exec, s[12:13]
	s_and_saveexec_b64 s[12:13], s[6:7]
	s_cbranch_execz .LBB4_200
; %bb.198:                              ;   in Loop: Header=BB4_6 Depth=1
	s_waitcnt vmcnt(0)
	v_div_scale_f64 v[22:23], s[6:7], v[2:3], v[2:3], 1.0
	v_rcp_f64_e32 v[26:27], v[22:23]
	v_div_scale_f64 v[28:29], vcc, 1.0, v[2:3], 1.0
	s_mov_b64 s[6:7], 0
	v_fma_f64 v[30:31], -v[22:23], v[26:27], 1.0
	v_fmac_f64_e32 v[26:27], v[26:27], v[30:31]
	v_fma_f64 v[30:31], -v[22:23], v[26:27], 1.0
	v_fmac_f64_e32 v[26:27], v[26:27], v[30:31]
	v_mul_f64 v[30:31], v[28:29], v[26:27]
	v_fma_f64 v[22:23], -v[22:23], v[30:31], v[28:29]
	v_div_fmas_f64 v[22:23], v[22:23], v[26:27], v[30:31]
	v_div_fixup_f64 v[2:3], v[22:23], v[2:3], 1.0
	v_mul_lo_u32 v22, v6, s27
	v_ashrrev_i32_e32 v23, 31, v22
	v_mov_b32_e32 v5, v0
.LBB4_199:                              ;   Parent Loop BB4_6 Depth=1
                                        ; =>  This Inner Loop Header: Depth=2
	v_add_u32_e32 v12, v6, v5
	v_lshl_add_u64 v[26:27], v[12:13], 0, v[24:25]
	v_lshl_add_u64 v[26:27], v[26:27], 3, s[30:31]
	global_load_dwordx2 v[26:27], v[26:27], off offset:8
	v_add_u32_e32 v5, 0x100, v5
	v_lshl_add_u64 v[28:29], v[12:13], 0, v[22:23]
	v_cmp_ge_i32_e32 vcc, v5, v39
	v_lshl_add_u64 v[28:29], v[28:29], 3, s[24:25]
	s_or_b64 s[6:7], vcc, s[6:7]
	s_waitcnt vmcnt(0)
	v_mul_f64 v[26:27], v[2:3], v[26:27]
	global_store_dwordx2 v[28:29], v[26:27], off offset:8
	s_andn2_b64 exec, exec, s[6:7]
	s_cbranch_execnz .LBB4_199
.LBB4_200:                              ;   in Loop: Header=BB4_6 Depth=1
	s_or_b64 exec, exec, s[12:13]
	s_mov_b64 s[12:13], exec
	v_mov_b32_e32 v5, 1
	s_barrier
.LBB4_201:                              ;   in Loop: Header=BB4_6 Depth=1
	s_or_b64 exec, exec, s[8:9]
	s_and_b64 vcc, exec, s[0:1]
	s_cbranch_vccz .LBB4_205
.LBB4_202:                              ;   in Loop: Header=BB4_6 Depth=1
	s_waitcnt vmcnt(0)
	ds_read_b32 v2, v13 offset:3100
	s_waitcnt lgkmcnt(0)
	v_readfirstlane_b32 s0, v2
	s_cmp_eq_u32 s0, 0
	s_cselect_b64 s[0:1], -1, 0
	s_and_b64 s[6:7], s[10:11], s[0:1]
	s_and_saveexec_b64 s[0:1], s[6:7]
; %bb.203:                              ;   in Loop: Header=BB4_6 Depth=1
	ds_write_b32 v13, v40 offset:3100
; %bb.204:                              ;   in Loop: Header=BB4_6 Depth=1
	s_or_b64 exec, exec, s[0:1]
	v_mov_b32_e32 v5, 1
	s_mov_b64 s[12:13], -1
	v_mov_b32_e32 v4, v6
.LBB4_205:                              ;   in Loop: Header=BB4_6 Depth=1
	s_and_saveexec_b64 s[0:1], s[10:11]
	s_cbranch_execz .LBB4_4
; %bb.206:                              ;   in Loop: Header=BB4_6 Depth=1
	s_xor_b64 s[6:7], s[12:13], -1
	s_waitcnt vmcnt(0)
	v_lshl_add_u64 v[2:3], v[6:7], 2, s[14:15]
	s_and_saveexec_b64 s[8:9], s[6:7]
	s_xor_b64 s[6:7], exec, s[8:9]
	s_cbranch_execz .LBB4_208
; %bb.207:                              ;   in Loop: Header=BB4_6 Depth=1
	v_not_b32_e32 v22, v4
	v_mov_b32_e32 v23, v22
	global_store_dwordx2 v[2:3], v[22:23], off
                                        ; implicit-def: $vgpr4
                                        ; implicit-def: $vgpr2_vgpr3
.LBB4_208:                              ;   in Loop: Header=BB4_6 Depth=1
	s_andn2_saveexec_b64 s[6:7], s[6:7]
	s_cbranch_execz .LBB4_4
; %bb.209:                              ;   in Loop: Header=BB4_6 Depth=1
	v_add_u32_e32 v4, 1, v4
	global_store_dword v[2:3], v4, off
	s_branch .LBB4_4
.LBB4_210:
	s_or_b64 exec, exec, s[54:55]
	s_and_saveexec_b64 s[0:1], s[10:11]
	s_cbranch_execz .LBB4_212
.LBB4_211:
	s_waitcnt vmcnt(0)
	v_mov_b32_e32 v2, 0
	s_lshl_b64 s[2:3], s[40:41], 2
	ds_read_b32 v3, v2 offset:3100
	s_add_u32 s4, s20, s2
	s_addc_u32 s5, s21, s3
	s_add_u32 s2, s18, s2
	s_addc_u32 s3, s19, s3
	global_store_dword v2, v6, s[4:5]
	s_waitcnt lgkmcnt(0)
	global_store_dword v2, v3, s[2:3]
.LBB4_212:
	s_or_b64 exec, exec, s[0:1]
	v_cmp_gt_i32_e32 vcc, s28, v6
	s_and_saveexec_b64 s[2:3], vcc
	s_cbranch_execz .LBB4_233
; %bb.213:
	v_ashrrev_i32_e32 v7, 31, v6
	s_add_u32 s0, s34, s42
	v_lshlrev_b64 v[4:5], 3, v[6:7]
	s_addc_u32 s1, s35, s43
	s_waitcnt vmcnt(0)
	v_lshl_add_u64 v[2:3], s[0:1], 0, v[4:5]
	s_ashr_i32 s1, s29, 31
	s_mov_b32 s0, s29
	s_lshl_b64 s[4:5], s[0:1], 3
	s_ashr_i32 s1, s28, 31
	s_mov_b32 s0, s28
	s_lshl_b64 s[6:7], s[0:1], 3
	s_add_u32 s0, s36, s38
	s_addc_u32 s1, s37, s39
	v_lshl_add_u64 v[4:5], s[0:1], 0, v[4:5]
	v_mov_b32_e32 v9, 0
	v_lshl_add_u64 v[4:5], v[4:5], 0, v[8:9]
	s_ashr_i32 s1, s27, 31
	s_mov_b32 s0, s27
	v_cmp_ne_u32_e32 vcc, 0, v6
	v_lshl_add_u64 v[4:5], s[22:23], 0, v[4:5]
	s_lshl_b64 s[8:9], s[0:1], 3
	s_mov_b64 s[10:11], 0
	s_mov_b64 s[12:13], 0x800
	v_mov_b32_e32 v10, v6
	s_branch .LBB4_215
.LBB4_214:                              ;   in Loop: Header=BB4_215 Depth=1
	s_or_b64 exec, exec, s[16:17]
	v_add_u32_e32 v10, s29, v10
	v_cmp_le_i32_e64 s[0:1], s28, v10
	v_lshl_add_u64 v[2:3], v[2:3], 0, s[4:5]
	s_or_b64 s[10:11], s[0:1], s[10:11]
	v_lshl_add_u64 v[4:5], v[4:5], 0, s[4:5]
	s_andn2_b64 exec, exec, s[10:11]
	s_cbranch_execz .LBB4_233
.LBB4_215:                              ; =>This Loop Header: Depth=1
                                        ;     Child Loop BB4_218 Depth 2
                                        ;       Child Loop BB4_221 Depth 3
                                        ;         Child Loop BB4_223 Depth 4
                                        ;     Child Loop BB4_229 Depth 2
                                        ;       Child Loop BB4_231 Depth 3
	v_sub_u32_e32 v7, s28, v10
	v_min_i32_e32 v11, s29, v7
	v_add_u32_e32 v12, v11, v10
	v_cmp_lt_i32_e64 s[0:1], 0, v11
	s_and_saveexec_b64 s[16:17], s[0:1]
	s_cbranch_execz .LBB4_225
; %bb.216:                              ;   in Loop: Header=BB4_215 Depth=1
	s_mov_b64 s[18:19], 0
	v_mov_b64_e32 v[14:15], v[4:5]
	v_mov_b64_e32 v[16:17], v[2:3]
	v_mov_b32_e32 v18, v10
	s_branch .LBB4_218
.LBB4_217:                              ;   in Loop: Header=BB4_218 Depth=2
	s_or_b64 exec, exec, s[20:21]
	v_add_u32_e32 v18, 1, v18
	v_cmp_ge_i32_e64 s[0:1], v18, v12
	v_lshl_add_u64 v[16:17], v[16:17], 0, 8
	s_or_b64 s[18:19], s[0:1], s[18:19]
	v_lshl_add_u64 v[14:15], v[14:15], 0, 8
	s_andn2_b64 exec, exec, s[18:19]
	s_cbranch_execz .LBB4_225
.LBB4_218:                              ;   Parent Loop BB4_215 Depth=1
                                        ; =>  This Loop Header: Depth=2
                                        ;       Child Loop BB4_221 Depth 3
                                        ;         Child Loop BB4_223 Depth 4
	v_sub_u32_e32 v13, v12, v18
	v_cmp_lt_i32_e64 s[0:1], v0, v13
	s_and_saveexec_b64 s[20:21], s[0:1]
	s_cbranch_execz .LBB4_217
; %bb.219:                              ;   in Loop: Header=BB4_218 Depth=2
	v_ashrrev_i32_e32 v19, 31, v18
	v_mul_lo_u32 v22, v18, s27
	v_lshl_add_u64 v[20:21], v[18:19], 3, s[24:25]
	v_ashrrev_i32_e32 v23, 31, v22
	v_lshl_add_u64 v[20:21], v[22:23], 3, v[20:21]
	s_mov_b64 s[22:23], 0
	v_mov_b64_e32 v[22:23], v[14:15]
	v_mov_b32_e32 v8, v0
	s_branch .LBB4_221
.LBB4_220:                              ;   in Loop: Header=BB4_221 Depth=3
	s_or_b64 exec, exec, s[34:35]
	v_lshl_add_u64 v[26:27], v[8:9], 3, v[20:21]
	global_load_dwordx2 v[28:29], v[26:27], off
	v_add_u32_e32 v8, 0x100, v8
	v_cmp_ge_i32_e64 s[0:1], v8, v13
	s_or_b64 s[22:23], s[0:1], s[22:23]
	v_lshl_add_u64 v[22:23], v[22:23], 0, s[12:13]
	s_waitcnt vmcnt(0)
	v_add_f64 v[24:25], v[28:29], -v[24:25]
	global_store_dwordx2 v[26:27], v[24:25], off
	s_andn2_b64 exec, exec, s[22:23]
	s_cbranch_execz .LBB4_217
.LBB4_221:                              ;   Parent Loop BB4_215 Depth=1
                                        ;     Parent Loop BB4_218 Depth=2
                                        ; =>    This Loop Header: Depth=3
                                        ;         Child Loop BB4_223 Depth 4
	v_mov_b64_e32 v[24:25], 0
	s_and_saveexec_b64 s[34:35], vcc
	s_cbranch_execz .LBB4_220
; %bb.222:                              ;   in Loop: Header=BB4_221 Depth=3
	v_mov_b64_e32 v[24:25], 0
	s_mov_b64 s[36:37], 0
	v_mov_b64_e32 v[26:27], v[22:23]
	v_mov_b64_e32 v[28:29], v[16:17]
	v_mov_b32_e32 v19, v6
.LBB4_223:                              ;   Parent Loop BB4_215 Depth=1
                                        ;     Parent Loop BB4_218 Depth=2
                                        ;       Parent Loop BB4_221 Depth=3
                                        ; =>      This Inner Loop Header: Depth=4
	global_load_dwordx2 v[30:31], v[26:27], off
	global_load_dwordx2 v[32:33], v[28:29], off
	v_add_u32_e32 v19, -1, v19
	v_cmp_eq_u32_e64 s[0:1], 0, v19
	v_lshl_add_u64 v[28:29], v[28:29], 0, s[6:7]
	v_lshl_add_u64 v[26:27], v[26:27], 0, s[8:9]
	s_or_b64 s[36:37], s[0:1], s[36:37]
	s_waitcnt vmcnt(0)
	v_fmac_f64_e32 v[24:25], v[30:31], v[32:33]
	s_andn2_b64 exec, exec, s[36:37]
	s_cbranch_execnz .LBB4_223
; %bb.224:                              ;   in Loop: Header=BB4_221 Depth=3
	s_or_b64 exec, exec, s[36:37]
	s_branch .LBB4_220
.LBB4_225:                              ;   in Loop: Header=BB4_215 Depth=1
	s_or_b64 exec, exec, s[16:17]
	v_cmp_gt_i32_e64 s[0:1], s28, v12
	s_and_saveexec_b64 s[16:17], s[0:1]
	s_cbranch_execz .LBB4_214
; %bb.226:                              ;   in Loop: Header=BB4_215 Depth=1
	v_sub_u32_e32 v7, v7, v11
	v_mul_lo_u32 v21, v7, v11
	v_cmp_lt_i32_e64 s[0:1], v0, v21
	s_and_b64 exec, exec, s[0:1]
	s_cbranch_execz .LBB4_214
; %bb.227:                              ;   in Loop: Header=BB4_215 Depth=1
	v_sub_u32_e32 v8, 0, v7
	v_max_i32_e32 v26, v7, v8
	v_cvt_f32_u32_e32 v8, v26
	v_ashrrev_i32_e32 v11, 31, v10
	v_lshl_add_u64 v[14:15], v[10:11], 3, s[30:31]
	v_sub_u32_e32 v11, 0, v26
	v_rcp_iflag_f32_e32 v8, v8
	v_ashrrev_i32_e32 v13, 31, v12
	v_mul_lo_u32 v16, v10, s27
	v_lshl_add_u64 v[12:13], v[12:13], 3, s[24:25]
	v_mul_f32_e32 v8, 0x4f7ffffe, v8
	v_cvt_u32_f32_e32 v8, v8
	v_ashrrev_i32_e32 v17, 31, v16
	v_ashrrev_i32_e32 v27, 31, v7
	v_lshl_add_u64 v[16:17], v[16:17], 3, v[12:13]
	v_mul_lo_u32 v11, v11, v8
	v_mul_hi_u32 v11, v8, v11
	v_add_u32_e32 v8, v8, v11
	s_mov_b64 s[18:19], 0
	v_mov_b32_e32 v11, v0
	s_branch .LBB4_229
.LBB4_228:                              ;   in Loop: Header=BB4_229 Depth=2
	s_or_b64 exec, exec, s[20:21]
	v_mad_u64_u32 v[22:23], s[0:1], v28, s27, v[20:21]
	v_ashrrev_i32_e32 v23, 31, v22
	v_lshl_add_u64 v[22:23], v[22:23], 3, v[16:17]
	global_load_dwordx2 v[24:25], v[22:23], off
	v_add_u32_e32 v11, 0x100, v11
	v_cmp_ge_i32_e64 s[0:1], v11, v21
	s_or_b64 s[18:19], s[0:1], s[18:19]
	s_waitcnt vmcnt(0)
	v_add_f64 v[18:19], v[24:25], -v[18:19]
	global_store_dwordx2 v[22:23], v[18:19], off
	s_andn2_b64 exec, exec, s[18:19]
	s_cbranch_execz .LBB4_214
.LBB4_229:                              ;   Parent Loop BB4_215 Depth=1
                                        ; =>  This Loop Header: Depth=2
                                        ;       Child Loop BB4_231 Depth 3
	v_mul_hi_u32 v18, v11, v8
	v_mul_lo_u32 v19, v18, v26
	v_sub_u32_e32 v19, v11, v19
	v_add_u32_e32 v20, 1, v18
	v_cmp_ge_u32_e64 s[0:1], v19, v26
	s_nop 1
	v_cndmask_b32_e64 v18, v18, v20, s[0:1]
	v_sub_u32_e32 v20, v19, v26
	v_cndmask_b32_e64 v19, v19, v20, s[0:1]
	v_add_u32_e32 v20, 1, v18
	v_cmp_ge_u32_e64 s[0:1], v19, v26
	s_nop 1
	v_cndmask_b32_e64 v18, v18, v20, s[0:1]
	v_xor_b32_e32 v18, v18, v27
	v_sub_u32_e32 v28, v18, v27
	v_mul_lo_u32 v18, v28, v7
	v_sub_u32_e32 v20, v11, v18
	v_mov_b64_e32 v[18:19], 0
	s_and_saveexec_b64 s[20:21], vcc
	s_cbranch_execz .LBB4_228
; %bb.230:                              ;   in Loop: Header=BB4_229 Depth=2
	v_mov_b64_e32 v[18:19], 0
	s_mov_b64 s[22:23], 0
	v_mov_b32_e32 v22, v20
	v_mov_b32_e32 v24, v28
	;; [unrolled: 1-line block ×3, first 2 shown]
.LBB4_231:                              ;   Parent Loop BB4_215 Depth=1
                                        ;     Parent Loop BB4_229 Depth=2
                                        ; =>    This Inner Loop Header: Depth=3
	v_ashrrev_i32_e32 v23, 31, v22
	v_ashrrev_i32_e32 v25, 31, v24
	v_lshl_add_u64 v[30:31], v[22:23], 3, v[12:13]
	v_lshl_add_u64 v[32:33], v[24:25], 3, v[14:15]
	global_load_dwordx2 v[30:31], v[30:31], off
	v_add_u32_e32 v29, -1, v29
	global_load_dwordx2 v[32:33], v[32:33], off
	v_cmp_eq_u32_e64 s[0:1], 0, v29
	v_add_u32_e32 v24, s28, v24
	s_or_b64 s[22:23], s[0:1], s[22:23]
	v_add_u32_e32 v22, s27, v22
	s_waitcnt vmcnt(0)
	v_fmac_f64_e32 v[18:19], v[30:31], v[32:33]
	s_andn2_b64 exec, exec, s[22:23]
	s_cbranch_execnz .LBB4_231
; %bb.232:                              ;   in Loop: Header=BB4_229 Depth=2
	s_or_b64 exec, exec, s[22:23]
	s_branch .LBB4_228
.LBB4_233:
	s_or_b64 exec, exec, s[2:3]
	v_cmp_lt_i32_e32 vcc, 1, v6
	s_waitcnt lgkmcnt(0)
	s_barrier
	s_and_saveexec_b64 s[0:1], vcc
	s_cbranch_execz .LBB4_241
; %bb.234:
	s_lshl_b32 s6, s27, 8
	s_mov_b64 s[2:3], 0
	s_waitcnt vmcnt(0)
	v_mov_b32_e32 v3, 0
	s_branch .LBB4_237
.LBB4_235:                              ;   in Loop: Header=BB4_237 Depth=1
	s_barrier
.LBB4_236:                              ;   in Loop: Header=BB4_237 Depth=1
	s_or_b64 exec, exec, s[0:1]
	v_cmp_gt_u32_e32 vcc, 2, v8
	s_or_b64 s[2:3], vcc, s[2:3]
	v_mov_b32_e32 v6, v8
	s_andn2_b64 exec, exec, s[2:3]
	s_cbranch_execz .LBB4_241
.LBB4_237:                              ; =>This Loop Header: Depth=1
                                        ;     Child Loop BB4_240 Depth 2
	v_add_u32_e32 v2, -1, v6
	v_lshl_add_u64 v[4:5], v[2:3], 2, s[14:15]
	global_load_dword v4, v[4:5], off
	v_add_u32_e32 v5, -2, v6
	s_waitcnt vmcnt(0)
	v_not_b32_e32 v7, v4
	v_add_u32_e32 v8, -1, v4
	v_cmp_gt_i32_e32 vcc, 0, v4
	s_nop 1
	v_cndmask_b32_e32 v9, v8, v7, vcc
	v_cndmask_b32_e32 v8, v2, v5, vcc
	v_cmp_ne_u32_e32 vcc, v9, v2
	v_cmp_ne_u32_e64 s[0:1], 0, v8
	s_and_b64 s[4:5], vcc, s[0:1]
	s_and_saveexec_b64 s[0:1], s[4:5]
	s_cbranch_execz .LBB4_236
; %bb.238:                              ;   in Loop: Header=BB4_237 Depth=1
	v_cmp_lt_i32_e32 vcc, v0, v8
	s_and_b64 exec, exec, vcc
	s_cbranch_execz .LBB4_235
; %bb.239:                              ;   in Loop: Header=BB4_237 Depth=1
	v_ashrrev_i32_e32 v7, 31, v6
	s_mov_b64 s[4:5], 0
	v_mov_b32_e32 v4, v1
	v_mov_b32_e32 v2, v0
.LBB4_240:                              ;   Parent Loop BB4_237 Depth=1
                                        ; =>  This Inner Loop Header: Depth=2
	v_ashrrev_i32_e32 v5, 31, v4
	v_add_u32_e32 v10, v9, v4
	v_lshl_add_u64 v[12:13], v[4:5], 0, v[6:7]
	v_ashrrev_i32_e32 v11, 31, v10
	v_lshl_add_u64 v[12:13], v[12:13], 3, s[24:25]
	v_lshl_add_u64 v[10:11], v[10:11], 3, s[24:25]
	global_load_dwordx2 v[14:15], v[12:13], off offset:-8
	global_load_dwordx2 v[16:17], v[10:11], off
	v_add_u32_e32 v2, 0x100, v2
	v_cmp_ge_i32_e32 vcc, v2, v8
	v_add_u32_e32 v4, s6, v4
	s_or_b64 s[4:5], vcc, s[4:5]
	s_waitcnt vmcnt(1)
	global_store_dwordx2 v[10:11], v[14:15], off
	s_waitcnt vmcnt(1)
	global_store_dwordx2 v[12:13], v[16:17], off offset:-8
	s_andn2_b64 exec, exec, s[4:5]
	s_cbranch_execnz .LBB4_240
	s_branch .LBB4_235
.LBB4_241:
	s_endpgm
.LBB4_242:
	v_mov_b32_e32 v6, 0
	s_and_saveexec_b64 s[0:1], s[10:11]
	s_cbranch_execnz .LBB4_211
	s_branch .LBB4_212
	.section	.rodata,"a",@progbits
	.p2align	6, 0x0
	.amdhsa_kernel _ZN9rocsolver6v33100L18lasyf_kernel_lowerIdPdEEviiPiT0_iilS3_lS3_PT_
		.amdhsa_group_segment_fixed_size 3104
		.amdhsa_private_segment_fixed_size 0
		.amdhsa_kernarg_size 72
		.amdhsa_user_sgpr_count 2
		.amdhsa_user_sgpr_dispatch_ptr 0
		.amdhsa_user_sgpr_queue_ptr 0
		.amdhsa_user_sgpr_kernarg_segment_ptr 1
		.amdhsa_user_sgpr_dispatch_id 0
		.amdhsa_user_sgpr_kernarg_preload_length 0
		.amdhsa_user_sgpr_kernarg_preload_offset 0
		.amdhsa_user_sgpr_private_segment_size 0
		.amdhsa_uses_dynamic_stack 0
		.amdhsa_enable_private_segment 0
		.amdhsa_system_sgpr_workgroup_id_x 1
		.amdhsa_system_sgpr_workgroup_id_y 1
		.amdhsa_system_sgpr_workgroup_id_z 0
		.amdhsa_system_sgpr_workgroup_info 0
		.amdhsa_system_vgpr_workitem_id 0
		.amdhsa_next_free_vgpr 56
		.amdhsa_next_free_sgpr 75
		.amdhsa_accum_offset 56
		.amdhsa_reserve_vcc 1
		.amdhsa_float_round_mode_32 0
		.amdhsa_float_round_mode_16_64 0
		.amdhsa_float_denorm_mode_32 3
		.amdhsa_float_denorm_mode_16_64 3
		.amdhsa_dx10_clamp 1
		.amdhsa_ieee_mode 1
		.amdhsa_fp16_overflow 0
		.amdhsa_tg_split 0
		.amdhsa_exception_fp_ieee_invalid_op 0
		.amdhsa_exception_fp_denorm_src 0
		.amdhsa_exception_fp_ieee_div_zero 0
		.amdhsa_exception_fp_ieee_overflow 0
		.amdhsa_exception_fp_ieee_underflow 0
		.amdhsa_exception_fp_ieee_inexact 0
		.amdhsa_exception_int_div_zero 0
	.end_amdhsa_kernel
	.section	.text._ZN9rocsolver6v33100L18lasyf_kernel_lowerIdPdEEviiPiT0_iilS3_lS3_PT_,"axG",@progbits,_ZN9rocsolver6v33100L18lasyf_kernel_lowerIdPdEEviiPiT0_iilS3_lS3_PT_,comdat
.Lfunc_end4:
	.size	_ZN9rocsolver6v33100L18lasyf_kernel_lowerIdPdEEviiPiT0_iilS3_lS3_PT_, .Lfunc_end4-_ZN9rocsolver6v33100L18lasyf_kernel_lowerIdPdEEviiPiT0_iilS3_lS3_PT_
                                        ; -- End function
	.set _ZN9rocsolver6v33100L18lasyf_kernel_lowerIdPdEEviiPiT0_iilS3_lS3_PT_.num_vgpr, 56
	.set _ZN9rocsolver6v33100L18lasyf_kernel_lowerIdPdEEviiPiT0_iilS3_lS3_PT_.num_agpr, 0
	.set _ZN9rocsolver6v33100L18lasyf_kernel_lowerIdPdEEviiPiT0_iilS3_lS3_PT_.numbered_sgpr, 75
	.set _ZN9rocsolver6v33100L18lasyf_kernel_lowerIdPdEEviiPiT0_iilS3_lS3_PT_.num_named_barrier, 0
	.set _ZN9rocsolver6v33100L18lasyf_kernel_lowerIdPdEEviiPiT0_iilS3_lS3_PT_.private_seg_size, 0
	.set _ZN9rocsolver6v33100L18lasyf_kernel_lowerIdPdEEviiPiT0_iilS3_lS3_PT_.uses_vcc, 1
	.set _ZN9rocsolver6v33100L18lasyf_kernel_lowerIdPdEEviiPiT0_iilS3_lS3_PT_.uses_flat_scratch, 0
	.set _ZN9rocsolver6v33100L18lasyf_kernel_lowerIdPdEEviiPiT0_iilS3_lS3_PT_.has_dyn_sized_stack, 0
	.set _ZN9rocsolver6v33100L18lasyf_kernel_lowerIdPdEEviiPiT0_iilS3_lS3_PT_.has_recursion, 0
	.set _ZN9rocsolver6v33100L18lasyf_kernel_lowerIdPdEEviiPiT0_iilS3_lS3_PT_.has_indirect_call, 0
	.section	.AMDGPU.csdata,"",@progbits
; Kernel info:
; codeLenInByte = 8720
; TotalNumSgprs: 81
; NumVgprs: 56
; NumAgprs: 0
; TotalNumVgprs: 56
; ScratchSize: 0
; MemoryBound: 0
; FloatMode: 240
; IeeeMode: 1
; LDSByteSize: 3104 bytes/workgroup (compile time only)
; SGPRBlocks: 10
; VGPRBlocks: 6
; NumSGPRsForWavesPerEU: 81
; NumVGPRsForWavesPerEU: 56
; AccumOffset: 56
; Occupancy: 8
; WaveLimiterHint : 1
; COMPUTE_PGM_RSRC2:SCRATCH_EN: 0
; COMPUTE_PGM_RSRC2:USER_SGPR: 2
; COMPUTE_PGM_RSRC2:TRAP_HANDLER: 0
; COMPUTE_PGM_RSRC2:TGID_X_EN: 1
; COMPUTE_PGM_RSRC2:TGID_Y_EN: 1
; COMPUTE_PGM_RSRC2:TGID_Z_EN: 0
; COMPUTE_PGM_RSRC2:TIDIG_COMP_CNT: 0
; COMPUTE_PGM_RSRC3_GFX90A:ACCUM_OFFSET: 13
; COMPUTE_PGM_RSRC3_GFX90A:TG_SPLIT: 0
	.section	.text._ZN9rocsolver6v33100L18lasyf_kernel_upperI19rocblas_complex_numIfEPS3_EEviiPiT0_iilS5_lS5_PT_,"axG",@progbits,_ZN9rocsolver6v33100L18lasyf_kernel_upperI19rocblas_complex_numIfEPS3_EEviiPiT0_iilS5_lS5_PT_,comdat
	.globl	_ZN9rocsolver6v33100L18lasyf_kernel_upperI19rocblas_complex_numIfEPS3_EEviiPiT0_iilS5_lS5_PT_ ; -- Begin function _ZN9rocsolver6v33100L18lasyf_kernel_upperI19rocblas_complex_numIfEPS3_EEviiPiT0_iilS5_lS5_PT_
	.p2align	8
	.type	_ZN9rocsolver6v33100L18lasyf_kernel_upperI19rocblas_complex_numIfEPS3_EEviiPiT0_iilS5_lS5_PT_,@function
_ZN9rocsolver6v33100L18lasyf_kernel_upperI19rocblas_complex_numIfEPS3_EEviiPiT0_iilS5_lS5_PT_: ; @_ZN9rocsolver6v33100L18lasyf_kernel_upperI19rocblas_complex_numIfEPS3_EEviiPiT0_iilS5_lS5_PT_
; %bb.0:
	s_mov_b32 s40, s3
	v_cmp_eq_u32_e64 s[10:11], 0, v0
	s_and_saveexec_b64 s[2:3], s[10:11]
; %bb.1:
	v_mov_b32_e32 v1, 0
	ds_write_b32 v1, v1 offset:2052
; %bb.2:
	s_or_b64 exec, exec, s[2:3]
	s_load_dwordx2 s[24:25], s[0:1], 0x18
	s_load_dwordx2 s[26:27], s[0:1], 0x0
	s_load_dwordx4 s[20:23], s[0:1], 0x8
	s_load_dwordx8 s[12:19], s[0:1], 0x20
	s_load_dwordx2 s[30:31], s[0:1], 0x40
	s_ashr_i32 s41, s40, 31
	s_waitcnt lgkmcnt(0)
	s_ashr_i32 s1, s24, 31
	s_mov_b32 s0, s24
	s_mul_hi_u32 s2, s12, s40
	s_mul_i32 s3, s12, s41
	s_add_i32 s2, s2, s3
	s_mul_i32 s3, s13, s40
	s_add_i32 s3, s2, s3
	s_mul_i32 s2, s12, s40
	s_lshl_b64 s[34:35], s[2:3], 3
	s_add_u32 s2, s22, s34
	s_addc_u32 s3, s23, s35
	s_lshl_b64 s[36:37], s[0:1], 3
	s_mul_i32 s0, s26, s40
	s_add_u32 s28, s2, s36
	s_mul_i32 s38, s0, s27
	s_mul_hi_u32 s0, s16, s40
	s_mul_i32 s1, s16, s41
	s_addc_u32 s29, s3, s37
	s_add_i32 s0, s0, s1
	s_mul_i32 s1, s17, s40
	s_add_i32 s1, s0, s1
	s_mul_i32 s0, s16, s40
	s_ashr_i32 s39, s38, 31
	s_lshl_b64 s[0:1], s[0:1], 2
	s_add_u32 s24, s14, s0
	s_addc_u32 s33, s15, s1
	s_add_i32 s66, s26, -1
	s_cmp_lt_i32 s66, 0
	v_lshlrev_b32_e32 v2, 3, v0
	v_add_u32_e32 v1, 1, v0
	s_mov_b32 s4, s27
	s_mov_b32 s14, s66
	s_cbranch_scc1 .LBB5_231
; %bb.3:
	s_sub_i32 s67, s27, s26
	s_lshl_b64 s[0:1], s[38:39], 3
	s_add_u32 s16, s30, s0
	s_addc_u32 s17, s31, s1
	s_add_i32 s74, s27, -1
	s_sub_i32 s68, s26, s27
	s_cmp_eq_u32 s27, s26
	s_cselect_b64 s[0:1], -1, 0
	s_add_i32 s69, s25, 1
	s_lshl_b32 s70, s26, 1
	s_add_u32 s6, s34, s36
	s_addc_u32 s7, s35, s37
	s_add_u32 s42, s22, s6
	s_addc_u32 s43, s23, s7
	v_mov_b32_e32 v5, 0
	s_add_u32 s44, s16, 4
	v_mov_b32_e32 v3, v5
	s_addc_u32 s45, s17, 0
	s_ashr_i32 s7, s26, 31
	s_mov_b32 s6, s26
	v_lshl_add_u64 v[6:7], s[42:43], 0, v[2:3]
	v_lshl_add_u64 v[8:9], s[16:17], 0, v[2:3]
	v_add_u32_e32 v3, s27, v0
	v_lshlrev_b32_e32 v34, 2, v0
	s_movk_i32 s2, 0x80
	s_lshl_b64 s[46:47], s[6:7], 3
	s_ashr_i32 s7, s25, 31
	s_mov_b32 s6, s25
	v_subrev_u32_e32 v3, s26, v3
	v_or_b32_e32 v35, 0x400, v34
	v_cmp_gt_u32_e64 s[2:3], s2, v0
	v_cmp_gt_u32_e64 s[4:5], 64, v0
	s_lshl_b64 s[48:49], s[6:7], 3
	s_lshl_b32 s71, s25, 8
	v_lshl_add_u64 v[10:11], v[8:9], 0, 8
	v_add_u32_e32 v3, 1, v3
	s_lshl_b32 s72, s26, 8
	s_mov_b64 s[50:51], 0x800
	s_mov_b64 s[52:53], 0xbf800000
	s_brev_b32 s73, -2
	v_mov_b32_e32 v12, -1.0
	s_xor_b64 s[54:55], s[0:1], -1
	s_mov_b32 s14, s66
	s_branch .LBB5_5
.LBB5_4:                                ;   in Loop: Header=BB5_5 Depth=1
	s_cbranch_execnz .LBB5_230
.LBB5_5:                                ; =>This Loop Header: Depth=1
                                        ;     Child Loop BB5_8 Depth 2
                                        ;     Child Loop BB5_16 Depth 2
                                        ;       Child Loop BB5_18 Depth 3
                                        ;     Child Loop BB5_22 Depth 2
                                        ;     Child Loop BB5_65 Depth 2
	;; [unrolled: 1-line block ×4, first 2 shown]
                                        ;       Child Loop BB5_78 Depth 3
                                        ;     Child Loop BB5_83 Depth 2
                                        ;     Child Loop BB5_125 Depth 2
	;; [unrolled: 1-line block ×9, first 2 shown]
	s_cmp_le_i32 s14, s68
	s_cselect_b64 s[0:1], -1, 0
	s_and_b64 s[0:1], s[54:55], s[0:1]
	s_and_b64 vcc, exec, s[0:1]
	s_cbranch_vccnz .LBB5_4
; %bb.6:                                ;   in Loop: Header=BB5_5 Depth=1
	v_cmp_ge_i32_e64 s[8:9], s14, v0
	s_and_saveexec_b64 s[0:1], s[8:9]
	s_cbranch_execz .LBB5_9
; %bb.7:                                ;   in Loop: Header=BB5_5 Depth=1
	s_mul_i32 s6, s14, s25
	s_mul_i32 s7, s74, s26
	v_add_u32_e32 v14, s7, v0
	v_add_u32_e32 v16, s6, v0
	v_ashrrev_i32_e32 v15, 31, v14
	v_ashrrev_i32_e32 v17, 31, v16
	v_lshl_add_u64 v[14:15], v[14:15], 3, s[16:17]
	v_lshl_add_u64 v[16:17], v[16:17], 3, s[42:43]
	s_mov_b64 s[6:7], 0
	v_mov_b32_e32 v4, v0
.LBB5_8:                                ;   Parent Loop BB5_5 Depth=1
                                        ; =>  This Inner Loop Header: Depth=2
	global_load_dwordx2 v[18:19], v[16:17], off
	v_add_u32_e32 v4, 0x100, v4
	v_cmp_lt_i32_e32 vcc, s14, v4
	v_lshl_add_u64 v[16:17], v[16:17], 0, s[50:51]
	s_or_b64 s[6:7], vcc, s[6:7]
	s_waitcnt vmcnt(0)
	global_store_dwordx2 v[14:15], v[18:19], off
	v_lshl_add_u64 v[14:15], v[14:15], 0, s[50:51]
	s_andn2_b64 exec, exec, s[6:7]
	s_cbranch_execnz .LBB5_8
.LBB5_9:                                ;   in Loop: Header=BB5_5 Depth=1
	s_or_b64 exec, exec, s[0:1]
	s_cmp_ge_i32 s14, s66
	s_cselect_b64 s[58:59], -1, 0
	s_cmp_lt_i32 s14, s66
	s_mov_b64 s[0:1], -1
	s_barrier
                                        ; implicit-def: $sgpr56
	s_cbranch_scc1 .LBB5_11
; %bb.10:                               ;   in Loop: Header=BB5_5 Depth=1
	s_mul_i32 s56, s74, s26
	s_ashr_i32 s57, s56, 31
	s_mov_b64 s[0:1], 0
.LBB5_11:                               ;   in Loop: Header=BB5_5 Depth=1
	s_andn2_b64 vcc, exec, s[0:1]
	s_cbranch_vccnz .LBB5_20
; %bb.12:                               ;   in Loop: Header=BB5_5 Depth=1
	s_mul_i32 s56, s74, s26
	s_ashr_i32 s57, s56, 31
	s_and_saveexec_b64 s[0:1], s[8:9]
	s_cbranch_execz .LBB5_19
; %bb.13:                               ;   in Loop: Header=BB5_5 Depth=1
	s_add_i32 s6, s14, 1
	s_mul_i32 s62, s6, s25
	s_add_i32 s6, s74, 1
	s_not_b32 s7, s14
	s_mul_i32 s60, s6, s26
	s_add_i32 s75, s26, s7
	s_ashr_i32 s63, s62, 31
	s_ashr_i32 s61, s60, 31
	s_lshl_b64 s[6:7], s[56:57], 3
	s_add_u32 s6, s16, s6
	s_addc_u32 s7, s17, s7
	s_mov_b32 s15, s53
	s_cmp_gt_i32 s75, 0
	s_cselect_b64 s[12:13], -1, 0
	s_lshl_b64 s[60:61], s[60:61], 3
	s_lshl_b64 s[64:65], s[14:15], 3
	s_add_u32 s15, s60, s64
	s_addc_u32 s61, s61, s65
	s_add_u32 s60, s44, s15
	s_addc_u32 s61, s45, s61
	v_lshl_add_u64 v[14:15], s[62:63], 3, v[6:7]
	s_mov_b64 s[62:63], 0
	v_mov_b32_e32 v4, v0
	s_branch .LBB5_16
.LBB5_14:                               ;   in Loop: Header=BB5_16 Depth=2
	v_mov_b32_e32 v13, 0
.LBB5_15:                               ;   in Loop: Header=BB5_16 Depth=2
	v_lshl_add_u64 v[18:19], v[4:5], 3, s[6:7]
	global_load_dwordx2 v[20:21], v[18:19], off
	v_mul_f32_e32 v25, 0, v13
	v_xor_b32_e32 v22, 0x80000000, v13
	v_add_u32_e32 v4, 0x100, v4
	v_cmp_lt_i32_e32 vcc, s14, v4
	s_or_b64 s[62:63], vcc, s[62:63]
	v_lshl_add_u64 v[14:15], v[14:15], 0, s[50:51]
	s_waitcnt vmcnt(0)
	v_mul_f32_e32 v16, 0, v21
	v_mov_b32_e32 v24, v20
	v_mov_b32_e32 v23, v21
	v_pk_add_f32 v[24:25], v[24:25], v[16:17] neg_lo:[0,1] neg_hi:[0,1]
	v_pk_mov_b32 v[16:17], v[16:17], v[20:21] op_sel:[1,0]
	s_nop 0
	v_pk_fma_f32 v[22:23], v[16:17], 0, v[22:23] op_sel_hi:[1,0,1] neg_lo:[1,0,0] neg_hi:[1,0,0]
	v_pk_fma_f32 v[16:17], v[16:17], 0, v[20:21] op_sel_hi:[1,0,1]
	s_nop 0
	v_mov_b32_e32 v23, v17
	v_pk_add_f32 v[16:17], v[22:23], v[24:25]
	global_store_dwordx2 v[18:19], v[16:17], off
	s_andn2_b64 exec, exec, s[62:63]
	s_cbranch_execz .LBB5_19
.LBB5_16:                               ;   Parent Loop BB5_5 Depth=1
                                        ; =>  This Loop Header: Depth=2
                                        ;       Child Loop BB5_18 Depth 3
	v_mov_b32_e32 v17, 0
	s_andn2_b64 vcc, exec, s[12:13]
	s_cbranch_vccnz .LBB5_14
; %bb.17:                               ;   in Loop: Header=BB5_16 Depth=2
	v_mov_b64_e32 v[18:19], v[14:15]
	s_mov_b64 s[64:65], s[60:61]
	s_mov_b32 s15, s75
	v_mov_b32_e32 v13, 0
.LBB5_18:                               ;   Parent Loop BB5_5 Depth=1
                                        ;     Parent Loop BB5_16 Depth=2
                                        ; =>    This Inner Loop Header: Depth=3
	global_load_dwordx2 v[20:21], v[18:19], off
	global_load_dwordx2 v[22:23], v5, s[64:65] offset:-4
	s_add_i32 s15, s15, -1
	s_add_u32 s64, s64, s46
	s_addc_u32 s65, s65, s47
	v_lshl_add_u64 v[18:19], v[18:19], 0, s[48:49]
	s_cmp_eq_u32 s15, 0
	s_waitcnt vmcnt(0)
	v_mul_f32_e32 v16, v23, v21
	v_mul_f32_e32 v21, v22, v21
	v_fma_f32 v16, v22, v20, -v16
	v_fmac_f32_e32 v21, v23, v20
	v_add_f32_e32 v13, v13, v16
	v_add_f32_e32 v17, v17, v21
	s_cbranch_scc0 .LBB5_18
	s_branch .LBB5_15
.LBB5_19:                               ;   in Loop: Header=BB5_5 Depth=1
	s_or_b64 exec, exec, s[0:1]
	s_barrier
.LBB5_20:                               ;   in Loop: Header=BB5_5 Depth=1
	v_cmp_gt_i32_e64 s[6:7], s14, v0
	v_bfrev_b32_e32 v4, -2
	v_mov_b32_e32 v13, 0
	s_and_saveexec_b64 s[60:61], s[6:7]
	s_cbranch_execz .LBB5_24
; %bb.21:                               ;   in Loop: Header=BB5_5 Depth=1
	v_lshl_add_u64 v[14:15], s[56:57], 3, v[8:9]
	v_bfrev_b32_e32 v4, -2
	v_mov_b32_e32 v13, 0
	s_mov_b64 s[62:63], 0
	v_mov_b32_e32 v16, v0
.LBB5_22:                               ;   Parent Loop BB5_5 Depth=1
                                        ; =>  This Inner Loop Header: Depth=2
	global_load_dwordx2 v[18:19], v[14:15], off
	v_cmp_eq_u32_e32 vcc, s73, v4
	v_add_u32_e32 v17, 1, v16
	v_add_u32_e32 v16, 0x100, v16
	v_cmp_le_i32_e64 s[0:1], s14, v16
	v_lshl_add_u64 v[14:15], v[14:15], 0, s[50:51]
	s_waitcnt vmcnt(0)
	v_cmp_gt_f32_e64 s[12:13], 0, v19
	s_nop 1
	v_cndmask_b32_e64 v19, v19, -v19, s[12:13]
	v_cmp_gt_f32_e64 s[12:13], 0, v18
	s_nop 1
	v_cndmask_b32_e64 v18, v18, -v18, s[12:13]
	v_add_f32_e32 v18, v18, v19
	v_cmp_lt_f32_e64 s[12:13], v13, v18
	s_or_b64 vcc, s[12:13], vcc
	v_cndmask_b32_e32 v4, v4, v17, vcc
	s_or_b64 s[62:63], s[0:1], s[62:63]
	v_cndmask_b32_e32 v13, v13, v18, vcc
	s_andn2_b64 exec, exec, s[62:63]
	s_cbranch_execnz .LBB5_22
; %bb.23:                               ;   in Loop: Header=BB5_5 Depth=1
	s_or_b64 exec, exec, s[62:63]
.LBB5_24:                               ;   in Loop: Header=BB5_5 Depth=1
	s_or_b64 exec, exec, s[60:61]
	s_cmp_lt_i32 s14, 2
	ds_write_b32 v35, v13
	ds_write_b32 v34, v4
	s_waitcnt lgkmcnt(0)
	s_barrier
	s_cbranch_scc1 .LBB5_59
; %bb.25:                               ;   in Loop: Header=BB5_5 Depth=1
	s_and_saveexec_b64 s[12:13], s[2:3]
	s_cbranch_execz .LBB5_31
; %bb.26:                               ;   in Loop: Header=BB5_5 Depth=1
	ds_read_b32 v14, v35 offset:512
	ds_read_b32 v15, v34 offset:512
	s_waitcnt lgkmcnt(1)
	v_cmp_lt_f32_e64 s[60:61], v13, v14
	v_cmp_nlt_f32_e32 vcc, v13, v14
	s_and_saveexec_b64 s[62:63], vcc
	s_cbranch_execz .LBB5_28
; %bb.27:                               ;   in Loop: Header=BB5_5 Depth=1
	v_cmp_eq_f32_e32 vcc, v13, v14
	s_waitcnt lgkmcnt(0)
	v_cmp_gt_i32_e64 s[0:1], v4, v15
	s_and_b64 s[0:1], vcc, s[0:1]
	s_andn2_b64 s[60:61], s[60:61], exec
	s_and_b64 s[0:1], s[0:1], exec
	s_or_b64 s[60:61], s[60:61], s[0:1]
.LBB5_28:                               ;   in Loop: Header=BB5_5 Depth=1
	s_or_b64 exec, exec, s[62:63]
	s_and_saveexec_b64 s[0:1], s[60:61]
	s_cbranch_execz .LBB5_30
; %bb.29:                               ;   in Loop: Header=BB5_5 Depth=1
	v_mov_b32_e32 v13, v14
	s_waitcnt lgkmcnt(0)
	v_mov_b32_e32 v4, v15
	ds_write_b32 v35, v14
	ds_write_b32 v34, v15
.LBB5_30:                               ;   in Loop: Header=BB5_5 Depth=1
	s_or_b64 exec, exec, s[0:1]
.LBB5_31:                               ;   in Loop: Header=BB5_5 Depth=1
	s_or_b64 exec, exec, s[12:13]
	s_waitcnt lgkmcnt(0)
	s_barrier
	s_and_saveexec_b64 s[60:61], s[4:5]
	s_cbranch_execz .LBB5_58
; %bb.32:                               ;   in Loop: Header=BB5_5 Depth=1
	ds_read_b32 v14, v35 offset:256
	ds_read_b32 v15, v34 offset:256
	s_waitcnt lgkmcnt(1)
	v_cmp_lt_f32_e64 s[12:13], v13, v14
	v_cmp_nlt_f32_e32 vcc, v13, v14
	s_and_saveexec_b64 s[62:63], vcc
	s_cbranch_execz .LBB5_34
; %bb.33:                               ;   in Loop: Header=BB5_5 Depth=1
	v_cmp_eq_f32_e32 vcc, v13, v14
	s_waitcnt lgkmcnt(0)
	v_cmp_gt_i32_e64 s[0:1], v4, v15
	s_and_b64 s[0:1], vcc, s[0:1]
	s_andn2_b64 s[12:13], s[12:13], exec
	s_and_b64 s[0:1], s[0:1], exec
	s_or_b64 s[12:13], s[12:13], s[0:1]
.LBB5_34:                               ;   in Loop: Header=BB5_5 Depth=1
	s_or_b64 exec, exec, s[62:63]
	s_and_saveexec_b64 s[0:1], s[12:13]
	s_cbranch_execz .LBB5_36
; %bb.35:                               ;   in Loop: Header=BB5_5 Depth=1
	s_waitcnt lgkmcnt(0)
	v_mov_b32_e32 v4, v15
	v_mov_b32_e32 v13, v14
	ds_write_b32 v35, v14
	ds_write_b32 v34, v15
.LBB5_36:                               ;   in Loop: Header=BB5_5 Depth=1
	s_or_b64 exec, exec, s[0:1]
	ds_read_b32 v14, v35 offset:128
	s_waitcnt lgkmcnt(1)
	ds_read_b32 v15, v34 offset:128
	s_waitcnt lgkmcnt(1)
	v_cmp_lt_f32_e64 s[12:13], v13, v14
	v_cmp_nlt_f32_e32 vcc, v13, v14
	s_and_saveexec_b64 s[62:63], vcc
	s_cbranch_execz .LBB5_38
; %bb.37:                               ;   in Loop: Header=BB5_5 Depth=1
	v_cmp_eq_f32_e32 vcc, v13, v14
	s_waitcnt lgkmcnt(0)
	v_cmp_gt_i32_e64 s[0:1], v4, v15
	s_and_b64 s[0:1], vcc, s[0:1]
	s_andn2_b64 s[12:13], s[12:13], exec
	s_and_b64 s[0:1], s[0:1], exec
	s_or_b64 s[12:13], s[12:13], s[0:1]
.LBB5_38:                               ;   in Loop: Header=BB5_5 Depth=1
	s_or_b64 exec, exec, s[62:63]
	s_and_saveexec_b64 s[0:1], s[12:13]
	s_cbranch_execz .LBB5_40
; %bb.39:                               ;   in Loop: Header=BB5_5 Depth=1
	s_waitcnt lgkmcnt(0)
	v_mov_b32_e32 v4, v15
	v_mov_b32_e32 v13, v14
	ds_write_b32 v35, v14
	ds_write_b32 v34, v15
.LBB5_40:                               ;   in Loop: Header=BB5_5 Depth=1
	s_or_b64 exec, exec, s[0:1]
	ds_read_b32 v14, v35 offset:64
	s_waitcnt lgkmcnt(1)
	ds_read_b32 v15, v34 offset:64
	s_waitcnt lgkmcnt(1)
	v_cmp_lt_f32_e64 s[12:13], v13, v14
	v_cmp_nlt_f32_e32 vcc, v13, v14
	s_and_saveexec_b64 s[62:63], vcc
	s_cbranch_execz .LBB5_42
; %bb.41:                               ;   in Loop: Header=BB5_5 Depth=1
	v_cmp_eq_f32_e32 vcc, v13, v14
	s_waitcnt lgkmcnt(0)
	v_cmp_gt_i32_e64 s[0:1], v4, v15
	s_and_b64 s[0:1], vcc, s[0:1]
	s_andn2_b64 s[12:13], s[12:13], exec
	s_and_b64 s[0:1], s[0:1], exec
	s_or_b64 s[12:13], s[12:13], s[0:1]
.LBB5_42:                               ;   in Loop: Header=BB5_5 Depth=1
	s_or_b64 exec, exec, s[62:63]
	s_and_saveexec_b64 s[0:1], s[12:13]
	s_cbranch_execz .LBB5_44
; %bb.43:                               ;   in Loop: Header=BB5_5 Depth=1
	s_waitcnt lgkmcnt(0)
	v_mov_b32_e32 v4, v15
	v_mov_b32_e32 v13, v14
	ds_write_b32 v35, v14
	ds_write_b32 v34, v15
.LBB5_44:                               ;   in Loop: Header=BB5_5 Depth=1
	s_or_b64 exec, exec, s[0:1]
	ds_read_b32 v14, v35 offset:32
	s_waitcnt lgkmcnt(1)
	ds_read_b32 v15, v34 offset:32
	s_waitcnt lgkmcnt(1)
	v_cmp_lt_f32_e64 s[12:13], v13, v14
	v_cmp_nlt_f32_e32 vcc, v13, v14
	s_and_saveexec_b64 s[62:63], vcc
	s_cbranch_execz .LBB5_46
; %bb.45:                               ;   in Loop: Header=BB5_5 Depth=1
	v_cmp_eq_f32_e32 vcc, v13, v14
	s_waitcnt lgkmcnt(0)
	v_cmp_gt_i32_e64 s[0:1], v4, v15
	s_and_b64 s[0:1], vcc, s[0:1]
	s_andn2_b64 s[12:13], s[12:13], exec
	s_and_b64 s[0:1], s[0:1], exec
	s_or_b64 s[12:13], s[12:13], s[0:1]
.LBB5_46:                               ;   in Loop: Header=BB5_5 Depth=1
	s_or_b64 exec, exec, s[62:63]
	s_and_saveexec_b64 s[0:1], s[12:13]
	s_cbranch_execz .LBB5_48
; %bb.47:                               ;   in Loop: Header=BB5_5 Depth=1
	s_waitcnt lgkmcnt(0)
	v_mov_b32_e32 v4, v15
	v_mov_b32_e32 v13, v14
	ds_write_b32 v35, v14
	ds_write_b32 v34, v15
.LBB5_48:                               ;   in Loop: Header=BB5_5 Depth=1
	s_or_b64 exec, exec, s[0:1]
	ds_read_b32 v14, v35 offset:16
	s_waitcnt lgkmcnt(1)
	ds_read_b32 v15, v34 offset:16
	s_waitcnt lgkmcnt(1)
	v_cmp_lt_f32_e64 s[12:13], v13, v14
	v_cmp_nlt_f32_e32 vcc, v13, v14
	s_and_saveexec_b64 s[62:63], vcc
	s_cbranch_execz .LBB5_50
; %bb.49:                               ;   in Loop: Header=BB5_5 Depth=1
	v_cmp_eq_f32_e32 vcc, v13, v14
	s_waitcnt lgkmcnt(0)
	v_cmp_gt_i32_e64 s[0:1], v4, v15
	s_and_b64 s[0:1], vcc, s[0:1]
	s_andn2_b64 s[12:13], s[12:13], exec
	s_and_b64 s[0:1], s[0:1], exec
	s_or_b64 s[12:13], s[12:13], s[0:1]
.LBB5_50:                               ;   in Loop: Header=BB5_5 Depth=1
	s_or_b64 exec, exec, s[62:63]
	s_and_saveexec_b64 s[0:1], s[12:13]
	s_cbranch_execz .LBB5_52
; %bb.51:                               ;   in Loop: Header=BB5_5 Depth=1
	s_waitcnt lgkmcnt(0)
	v_mov_b32_e32 v4, v15
	v_mov_b32_e32 v13, v14
	ds_write_b32 v35, v14
	ds_write_b32 v34, v15
.LBB5_52:                               ;   in Loop: Header=BB5_5 Depth=1
	s_or_b64 exec, exec, s[0:1]
	ds_read_b32 v14, v35 offset:8
	s_waitcnt lgkmcnt(1)
	ds_read_b32 v15, v34 offset:8
	s_waitcnt lgkmcnt(1)
	v_cmp_lt_f32_e64 s[12:13], v13, v14
	v_cmp_nlt_f32_e32 vcc, v13, v14
	s_and_saveexec_b64 s[62:63], vcc
	s_cbranch_execz .LBB5_54
; %bb.53:                               ;   in Loop: Header=BB5_5 Depth=1
	v_cmp_eq_f32_e32 vcc, v13, v14
	s_waitcnt lgkmcnt(0)
	v_cmp_gt_i32_e64 s[0:1], v4, v15
	s_and_b64 s[0:1], vcc, s[0:1]
	s_andn2_b64 s[12:13], s[12:13], exec
	s_and_b64 s[0:1], s[0:1], exec
	s_or_b64 s[12:13], s[12:13], s[0:1]
.LBB5_54:                               ;   in Loop: Header=BB5_5 Depth=1
	s_or_b64 exec, exec, s[62:63]
	s_and_saveexec_b64 s[0:1], s[12:13]
	s_cbranch_execz .LBB5_56
; %bb.55:                               ;   in Loop: Header=BB5_5 Depth=1
	s_waitcnt lgkmcnt(0)
	v_mov_b32_e32 v4, v15
	v_mov_b32_e32 v13, v14
	ds_write_b32 v35, v14
	ds_write_b32 v34, v15
.LBB5_56:                               ;   in Loop: Header=BB5_5 Depth=1
	s_or_b64 exec, exec, s[0:1]
	ds_read_b32 v14, v35 offset:4
	s_waitcnt lgkmcnt(1)
	ds_read_b32 v15, v34 offset:4
	s_waitcnt lgkmcnt(1)
	v_cmp_eq_f32_e64 s[0:1], v13, v14
	s_waitcnt lgkmcnt(0)
	v_cmp_gt_i32_e64 s[12:13], v4, v15
	v_cmp_lt_f32_e32 vcc, v13, v14
	s_and_b64 s[0:1], s[0:1], s[12:13]
	s_or_b64 s[0:1], vcc, s[0:1]
	s_and_b64 exec, exec, s[0:1]
	s_cbranch_execz .LBB5_58
; %bb.57:                               ;   in Loop: Header=BB5_5 Depth=1
	ds_write_b32 v35, v14
	ds_write_b32 v34, v15
.LBB5_58:                               ;   in Loop: Header=BB5_5 Depth=1
	s_or_b64 exec, exec, s[60:61]
.LBB5_59:                               ;   in Loop: Header=BB5_5 Depth=1
	s_and_saveexec_b64 s[0:1], s[10:11]
	s_cbranch_execz .LBB5_61
; %bb.60:                               ;   in Loop: Header=BB5_5 Depth=1
	s_add_i32 s12, s56, s14
	s_ashr_i32 s13, s12, 31
	s_lshl_b64 s[12:13], s[12:13], 3
	s_add_u32 s12, s16, s12
	s_addc_u32 s13, s17, s13
	global_load_dwordx2 v[14:15], v5, s[12:13]
	ds_read2st64_b32 v[16:17], v5 offset1:4
	s_waitcnt lgkmcnt(0)
	v_add_u32_e32 v4, -1, v16
	ds_write_b32 v5, v4 offset:2048
	s_waitcnt vmcnt(0)
	v_cmp_gt_f32_e32 vcc, 0, v15
	s_nop 1
	v_cndmask_b32_e64 v4, v15, -v15, vcc
	v_cmp_gt_f32_e32 vcc, 0, v14
	s_nop 1
	v_cndmask_b32_e64 v13, v14, -v14, vcc
	v_add_f32_e32 v16, v13, v4
	ds_write_b64 v5, v[16:17] offset:2056
.LBB5_61:                               ;   in Loop: Header=BB5_5 Depth=1
	s_or_b64 exec, exec, s[0:1]
	s_waitcnt lgkmcnt(0)
	s_barrier
	ds_read_b64 v[14:15], v5 offset:2056
	s_waitcnt lgkmcnt(0)
	v_cmp_lt_f32_e32 vcc, v14, v15
	s_nop 1
	v_cndmask_b32_e32 v4, v14, v15, vcc
	v_cmp_neq_f32_e32 vcc, 0, v4
	s_cbranch_vccz .LBB5_79
; %bb.62:                               ;   in Loop: Header=BB5_5 Depth=1
	v_mul_f32_e32 v4, 0x3f23f07b, v15
	v_cmp_ge_f32_e32 vcc, v14, v4
	s_cbranch_vccnz .LBB5_171
; %bb.63:                               ;   in Loop: Header=BB5_5 Depth=1
	ds_read_b32 v4, v5 offset:2048
	s_waitcnt lgkmcnt(0)
	v_readfirstlane_b32 s15, v4
	v_cmp_le_i32_e32 vcc, v0, v4
	s_and_saveexec_b64 s[0:1], vcc
	s_cbranch_execz .LBB5_66
; %bb.64:                               ;   in Loop: Header=BB5_5 Depth=1
	s_add_i32 s13, s74, -1
	s_mul_i32 s12, s15, s25
	s_mul_i32 s13, s13, s26
	v_add_u32_e32 v14, s13, v0
	v_add_u32_e32 v16, s12, v0
	v_ashrrev_i32_e32 v15, 31, v14
	v_ashrrev_i32_e32 v17, 31, v16
	v_lshl_add_u64 v[14:15], v[14:15], 3, s[16:17]
	v_lshl_add_u64 v[16:17], v[16:17], 3, s[42:43]
	s_mov_b64 s[12:13], 0
	v_mov_b32_e32 v4, v0
.LBB5_65:                               ;   Parent Loop BB5_5 Depth=1
                                        ; =>  This Inner Loop Header: Depth=2
	global_load_dwordx2 v[18:19], v[16:17], off
	v_add_u32_e32 v4, 0x100, v4
	v_cmp_lt_i32_e32 vcc, s15, v4
	v_lshl_add_u64 v[16:17], v[16:17], 0, s[50:51]
	s_or_b64 s[12:13], vcc, s[12:13]
	s_waitcnt vmcnt(0)
	global_store_dwordx2 v[14:15], v[18:19], off
	v_lshl_add_u64 v[14:15], v[14:15], 0, s[50:51]
	s_andn2_b64 exec, exec, s[12:13]
	s_cbranch_execnz .LBB5_65
.LBB5_66:                               ;   in Loop: Header=BB5_5 Depth=1
	s_or_b64 exec, exec, s[0:1]
	s_sub_i32 s57, s14, s15
	v_cmp_gt_i32_e32 vcc, s57, v0
	s_and_saveexec_b64 s[0:1], vcc
	s_cbranch_execz .LBB5_69
; %bb.67:                               ;   in Loop: Header=BB5_5 Depth=1
	s_add_i32 s12, s74, -1
	s_mul_i32 s12, s12, s26
	v_add_u32_e32 v4, s15, v1
	s_add_i32 s60, s15, s12
	v_mul_lo_u32 v4, s25, v4
	s_add_i32 s60, s60, 1
	v_add_u32_e32 v14, s15, v4
	s_mov_b64 s[12:13], 0
	v_mov_b32_e32 v4, v0
.LBB5_68:                               ;   Parent Loop BB5_5 Depth=1
                                        ; =>  This Inner Loop Header: Depth=2
	v_ashrrev_i32_e32 v15, 31, v14
	v_lshl_add_u64 v[16:17], v[14:15], 3, s[28:29]
	global_load_dwordx2 v[16:17], v[16:17], off
	v_add_u32_e32 v18, s60, v4
	v_add_u32_e32 v4, 0x100, v4
	v_ashrrev_i32_e32 v19, 31, v18
	v_cmp_le_i32_e32 vcc, s57, v4
	v_add_u32_e32 v14, s71, v14
	v_lshl_add_u64 v[18:19], v[18:19], 3, s[16:17]
	s_or_b64 s[12:13], vcc, s[12:13]
	s_waitcnt vmcnt(0)
	global_store_dwordx2 v[18:19], v[16:17], off
	s_andn2_b64 exec, exec, s[12:13]
	s_cbranch_execnz .LBB5_68
.LBB5_69:                               ;   in Loop: Header=BB5_5 Depth=1
	s_or_b64 exec, exec, s[0:1]
	s_andn2_b64 vcc, exec, s[58:59]
	s_mov_b64 s[0:1], -1
	s_barrier
                                        ; implicit-def: $sgpr58
	s_cbranch_vccnz .LBB5_71
; %bb.70:                               ;   in Loop: Header=BB5_5 Depth=1
	s_add_i32 s0, s74, -1
	s_mul_i32 s58, s0, s26
	s_ashr_i32 s59, s58, 31
	s_mov_b64 s[0:1], 0
.LBB5_71:                               ;   in Loop: Header=BB5_5 Depth=1
	s_andn2_b64 vcc, exec, s[0:1]
	s_cbranch_vccnz .LBB5_81
; %bb.72:                               ;   in Loop: Header=BB5_5 Depth=1
	s_add_i32 s0, s74, 1
	s_mul_i32 s62, s0, s26
	s_sub_i32 s58, s62, s70
	s_ashr_i32 s59, s58, 31
	s_and_saveexec_b64 s[0:1], s[8:9]
	s_cbranch_execz .LBB5_80
; %bb.73:                               ;   in Loop: Header=BB5_5 Depth=1
	s_add_i32 s12, s14, 1
	ds_read_b32 v14, v5 offset:2048
	s_not_b32 s13, s14
	s_mul_i32 s64, s12, s25
	s_add_i32 s15, s26, s13
	s_ashr_i32 s65, s64, 31
	s_ashr_i32 s63, s62, 31
	s_lshl_b64 s[12:13], s[58:59], 3
	s_add_u32 s12, s16, s12
	s_addc_u32 s13, s17, s13
	s_waitcnt lgkmcnt(0)
	v_ashrrev_i32_e32 v15, 31, v14
	s_cmp_gt_i32 s15, 0
	s_cselect_b64 s[60:61], -1, 0
	v_lshlrev_b64 v[14:15], 3, v[14:15]
	s_lshl_b64 s[62:63], s[62:63], 3
	v_lshl_add_u64 v[14:15], v[14:15], 0, s[62:63]
	v_lshl_add_u64 v[14:15], s[44:45], 0, v[14:15]
	;; [unrolled: 1-line block ×3, first 2 shown]
	s_mov_b64 s[62:63], 0
	v_mov_b32_e32 v4, v0
	s_branch .LBB5_76
.LBB5_74:                               ;   in Loop: Header=BB5_76 Depth=2
	v_mov_b32_e32 v13, 0
.LBB5_75:                               ;   in Loop: Header=BB5_76 Depth=2
	v_lshl_add_u64 v[20:21], v[4:5], 3, s[12:13]
	global_load_dwordx2 v[22:23], v[20:21], off
	v_mul_f32_e32 v27, 0, v13
	v_xor_b32_e32 v24, 0x80000000, v13
	v_add_u32_e32 v4, 0x100, v4
	v_cmp_lt_i32_e32 vcc, s14, v4
	s_or_b64 s[62:63], vcc, s[62:63]
	v_lshl_add_u64 v[16:17], v[16:17], 0, s[50:51]
	s_waitcnt vmcnt(0)
	v_mul_f32_e32 v18, 0, v23
	v_mov_b32_e32 v26, v22
	v_mov_b32_e32 v25, v23
	v_pk_add_f32 v[26:27], v[26:27], v[18:19] neg_lo:[0,1] neg_hi:[0,1]
	v_pk_mov_b32 v[18:19], v[18:19], v[22:23] op_sel:[1,0]
	s_nop 0
	v_pk_fma_f32 v[24:25], v[18:19], 0, v[24:25] op_sel_hi:[1,0,1] neg_lo:[1,0,0] neg_hi:[1,0,0]
	v_pk_fma_f32 v[18:19], v[18:19], 0, v[22:23] op_sel_hi:[1,0,1]
	s_nop 0
	v_mov_b32_e32 v25, v19
	v_pk_add_f32 v[18:19], v[24:25], v[26:27]
	global_store_dwordx2 v[20:21], v[18:19], off
	s_andn2_b64 exec, exec, s[62:63]
	s_cbranch_execz .LBB5_80
.LBB5_76:                               ;   Parent Loop BB5_5 Depth=1
                                        ; =>  This Loop Header: Depth=2
                                        ;       Child Loop BB5_78 Depth 3
	v_mov_b32_e32 v19, 0
	s_andn2_b64 vcc, exec, s[60:61]
	s_cbranch_vccnz .LBB5_74
; %bb.77:                               ;   in Loop: Header=BB5_76 Depth=2
	v_mov_b64_e32 v[20:21], v[16:17]
	v_mov_b64_e32 v[22:23], v[14:15]
	s_mov_b32 s57, s15
	v_mov_b32_e32 v13, 0
.LBB5_78:                               ;   Parent Loop BB5_5 Depth=1
                                        ;     Parent Loop BB5_76 Depth=2
                                        ; =>    This Inner Loop Header: Depth=3
	global_load_dwordx2 v[24:25], v[20:21], off
	global_load_dwordx2 v[26:27], v[22:23], off offset:-4
	s_add_i32 s57, s57, -1
	v_lshl_add_u64 v[22:23], v[22:23], 0, s[46:47]
	v_lshl_add_u64 v[20:21], v[20:21], 0, s[48:49]
	s_cmp_eq_u32 s57, 0
	s_waitcnt vmcnt(0)
	v_mul_f32_e32 v18, v27, v25
	v_mul_f32_e32 v25, v26, v25
	v_fma_f32 v18, v26, v24, -v18
	v_fmac_f32_e32 v25, v27, v24
	v_add_f32_e32 v13, v13, v18
	v_add_f32_e32 v19, v19, v25
	s_cbranch_scc0 .LBB5_78
	s_branch .LBB5_75
.LBB5_79:                               ;   in Loop: Header=BB5_5 Depth=1
	s_mov_b64 s[0:1], -1
                                        ; implicit-def: $sgpr57
                                        ; implicit-def: $sgpr12
                                        ; implicit-def: $sgpr8_sgpr9
	s_branch .LBB5_220
.LBB5_80:                               ;   in Loop: Header=BB5_5 Depth=1
	s_or_b64 exec, exec, s[0:1]
	s_barrier
.LBB5_81:                               ;   in Loop: Header=BB5_5 Depth=1
	ds_read_b32 v14, v5 offset:2048
	v_bfrev_b32_e32 v4, -2
	v_mov_b32_e32 v13, 0
	s_waitcnt lgkmcnt(0)
	v_sub_u32_e32 v16, s14, v14
	v_cmp_lt_i32_e32 vcc, v0, v16
	s_and_saveexec_b64 s[60:61], vcc
	s_cbranch_execz .LBB5_85
; %bb.82:                               ;   in Loop: Header=BB5_5 Depth=1
	v_ashrrev_i32_e32 v15, 31, v14
	s_lshl_b64 s[0:1], s[58:59], 3
	v_lshlrev_b64 v[14:15], 3, v[14:15]
	v_lshl_add_u64 v[14:15], s[0:1], 0, v[14:15]
	v_lshl_add_u64 v[14:15], v[10:11], 0, v[14:15]
	v_bfrev_b32_e32 v4, -2
	v_mov_b32_e32 v13, 0
	s_mov_b64 s[62:63], 0
	v_mov_b32_e32 v17, v0
.LBB5_83:                               ;   Parent Loop BB5_5 Depth=1
                                        ; =>  This Inner Loop Header: Depth=2
	global_load_dwordx2 v[18:19], v[14:15], off
	v_cmp_eq_u32_e32 vcc, s73, v4
	v_add_u32_e32 v20, 1, v17
	v_add_u32_e32 v17, 0x100, v17
	v_cmp_ge_i32_e64 s[0:1], v17, v16
	v_lshl_add_u64 v[14:15], v[14:15], 0, s[50:51]
	s_waitcnt vmcnt(0)
	v_cmp_gt_f32_e64 s[12:13], 0, v19
	s_nop 1
	v_cndmask_b32_e64 v19, v19, -v19, s[12:13]
	v_cmp_gt_f32_e64 s[12:13], 0, v18
	s_nop 1
	v_cndmask_b32_e64 v18, v18, -v18, s[12:13]
	v_add_f32_e32 v18, v18, v19
	v_cmp_lt_f32_e64 s[12:13], v13, v18
	s_or_b64 vcc, s[12:13], vcc
	v_cndmask_b32_e32 v4, v4, v20, vcc
	s_or_b64 s[62:63], s[0:1], s[62:63]
	v_cndmask_b32_e32 v13, v13, v18, vcc
	s_andn2_b64 exec, exec, s[62:63]
	s_cbranch_execnz .LBB5_83
; %bb.84:                               ;   in Loop: Header=BB5_5 Depth=1
	s_or_b64 exec, exec, s[62:63]
.LBB5_85:                               ;   in Loop: Header=BB5_5 Depth=1
	s_or_b64 exec, exec, s[60:61]
	v_cmp_gt_i32_e32 vcc, 2, v16
	s_and_b64 vcc, exec, vcc
	ds_write_b32 v35, v13
	ds_write_b32 v34, v4
	s_waitcnt lgkmcnt(0)
	s_barrier
	s_cbranch_vccnz .LBB5_120
; %bb.86:                               ;   in Loop: Header=BB5_5 Depth=1
	s_and_saveexec_b64 s[12:13], s[2:3]
	s_cbranch_execz .LBB5_92
; %bb.87:                               ;   in Loop: Header=BB5_5 Depth=1
	ds_read_b32 v14, v35 offset:512
	ds_read_b32 v15, v34 offset:512
	s_waitcnt lgkmcnt(1)
	v_cmp_lt_f32_e64 s[60:61], v13, v14
	v_cmp_nlt_f32_e32 vcc, v13, v14
	s_and_saveexec_b64 s[62:63], vcc
	s_cbranch_execz .LBB5_89
; %bb.88:                               ;   in Loop: Header=BB5_5 Depth=1
	v_cmp_eq_f32_e32 vcc, v13, v14
	s_waitcnt lgkmcnt(0)
	v_cmp_gt_i32_e64 s[0:1], v4, v15
	s_and_b64 s[0:1], vcc, s[0:1]
	s_andn2_b64 s[60:61], s[60:61], exec
	s_and_b64 s[0:1], s[0:1], exec
	s_or_b64 s[60:61], s[60:61], s[0:1]
.LBB5_89:                               ;   in Loop: Header=BB5_5 Depth=1
	s_or_b64 exec, exec, s[62:63]
	s_and_saveexec_b64 s[0:1], s[60:61]
	s_cbranch_execz .LBB5_91
; %bb.90:                               ;   in Loop: Header=BB5_5 Depth=1
	v_mov_b32_e32 v13, v14
	s_waitcnt lgkmcnt(0)
	v_mov_b32_e32 v4, v15
	ds_write_b32 v35, v14
	ds_write_b32 v34, v15
.LBB5_91:                               ;   in Loop: Header=BB5_5 Depth=1
	s_or_b64 exec, exec, s[0:1]
.LBB5_92:                               ;   in Loop: Header=BB5_5 Depth=1
	s_or_b64 exec, exec, s[12:13]
	s_waitcnt lgkmcnt(0)
	s_barrier
	s_and_saveexec_b64 s[60:61], s[4:5]
	s_cbranch_execz .LBB5_119
; %bb.93:                               ;   in Loop: Header=BB5_5 Depth=1
	ds_read_b32 v14, v35 offset:256
	ds_read_b32 v15, v34 offset:256
	s_waitcnt lgkmcnt(1)
	v_cmp_lt_f32_e64 s[12:13], v13, v14
	v_cmp_nlt_f32_e32 vcc, v13, v14
	s_and_saveexec_b64 s[62:63], vcc
	s_cbranch_execz .LBB5_95
; %bb.94:                               ;   in Loop: Header=BB5_5 Depth=1
	v_cmp_eq_f32_e32 vcc, v13, v14
	s_waitcnt lgkmcnt(0)
	v_cmp_gt_i32_e64 s[0:1], v4, v15
	s_and_b64 s[0:1], vcc, s[0:1]
	s_andn2_b64 s[12:13], s[12:13], exec
	s_and_b64 s[0:1], s[0:1], exec
	s_or_b64 s[12:13], s[12:13], s[0:1]
.LBB5_95:                               ;   in Loop: Header=BB5_5 Depth=1
	s_or_b64 exec, exec, s[62:63]
	s_and_saveexec_b64 s[0:1], s[12:13]
	s_cbranch_execz .LBB5_97
; %bb.96:                               ;   in Loop: Header=BB5_5 Depth=1
	s_waitcnt lgkmcnt(0)
	v_mov_b32_e32 v4, v15
	v_mov_b32_e32 v13, v14
	ds_write_b32 v35, v14
	ds_write_b32 v34, v15
.LBB5_97:                               ;   in Loop: Header=BB5_5 Depth=1
	s_or_b64 exec, exec, s[0:1]
	ds_read_b32 v14, v35 offset:128
	s_waitcnt lgkmcnt(1)
	ds_read_b32 v15, v34 offset:128
	s_waitcnt lgkmcnt(1)
	v_cmp_lt_f32_e64 s[12:13], v13, v14
	v_cmp_nlt_f32_e32 vcc, v13, v14
	s_and_saveexec_b64 s[62:63], vcc
	s_cbranch_execz .LBB5_99
; %bb.98:                               ;   in Loop: Header=BB5_5 Depth=1
	v_cmp_eq_f32_e32 vcc, v13, v14
	s_waitcnt lgkmcnt(0)
	v_cmp_gt_i32_e64 s[0:1], v4, v15
	s_and_b64 s[0:1], vcc, s[0:1]
	s_andn2_b64 s[12:13], s[12:13], exec
	s_and_b64 s[0:1], s[0:1], exec
	s_or_b64 s[12:13], s[12:13], s[0:1]
.LBB5_99:                               ;   in Loop: Header=BB5_5 Depth=1
	s_or_b64 exec, exec, s[62:63]
	s_and_saveexec_b64 s[0:1], s[12:13]
	s_cbranch_execz .LBB5_101
; %bb.100:                              ;   in Loop: Header=BB5_5 Depth=1
	s_waitcnt lgkmcnt(0)
	v_mov_b32_e32 v4, v15
	v_mov_b32_e32 v13, v14
	ds_write_b32 v35, v14
	ds_write_b32 v34, v15
.LBB5_101:                              ;   in Loop: Header=BB5_5 Depth=1
	s_or_b64 exec, exec, s[0:1]
	ds_read_b32 v14, v35 offset:64
	s_waitcnt lgkmcnt(1)
	ds_read_b32 v15, v34 offset:64
	s_waitcnt lgkmcnt(1)
	v_cmp_lt_f32_e64 s[12:13], v13, v14
	v_cmp_nlt_f32_e32 vcc, v13, v14
	s_and_saveexec_b64 s[62:63], vcc
	s_cbranch_execz .LBB5_103
; %bb.102:                              ;   in Loop: Header=BB5_5 Depth=1
	v_cmp_eq_f32_e32 vcc, v13, v14
	s_waitcnt lgkmcnt(0)
	v_cmp_gt_i32_e64 s[0:1], v4, v15
	s_and_b64 s[0:1], vcc, s[0:1]
	s_andn2_b64 s[12:13], s[12:13], exec
	s_and_b64 s[0:1], s[0:1], exec
	s_or_b64 s[12:13], s[12:13], s[0:1]
.LBB5_103:                              ;   in Loop: Header=BB5_5 Depth=1
	s_or_b64 exec, exec, s[62:63]
	s_and_saveexec_b64 s[0:1], s[12:13]
	s_cbranch_execz .LBB5_105
; %bb.104:                              ;   in Loop: Header=BB5_5 Depth=1
	s_waitcnt lgkmcnt(0)
	v_mov_b32_e32 v4, v15
	v_mov_b32_e32 v13, v14
	ds_write_b32 v35, v14
	ds_write_b32 v34, v15
.LBB5_105:                              ;   in Loop: Header=BB5_5 Depth=1
	s_or_b64 exec, exec, s[0:1]
	ds_read_b32 v14, v35 offset:32
	s_waitcnt lgkmcnt(1)
	ds_read_b32 v15, v34 offset:32
	s_waitcnt lgkmcnt(1)
	v_cmp_lt_f32_e64 s[12:13], v13, v14
	v_cmp_nlt_f32_e32 vcc, v13, v14
	s_and_saveexec_b64 s[62:63], vcc
	s_cbranch_execz .LBB5_107
; %bb.106:                              ;   in Loop: Header=BB5_5 Depth=1
	v_cmp_eq_f32_e32 vcc, v13, v14
	s_waitcnt lgkmcnt(0)
	v_cmp_gt_i32_e64 s[0:1], v4, v15
	s_and_b64 s[0:1], vcc, s[0:1]
	s_andn2_b64 s[12:13], s[12:13], exec
	s_and_b64 s[0:1], s[0:1], exec
	s_or_b64 s[12:13], s[12:13], s[0:1]
.LBB5_107:                              ;   in Loop: Header=BB5_5 Depth=1
	;; [unrolled: 28-line block ×4, first 2 shown]
	s_or_b64 exec, exec, s[62:63]
	s_and_saveexec_b64 s[0:1], s[12:13]
	s_cbranch_execz .LBB5_117
; %bb.116:                              ;   in Loop: Header=BB5_5 Depth=1
	s_waitcnt lgkmcnt(0)
	v_mov_b32_e32 v4, v15
	v_mov_b32_e32 v13, v14
	ds_write_b32 v35, v14
	ds_write_b32 v34, v15
.LBB5_117:                              ;   in Loop: Header=BB5_5 Depth=1
	s_or_b64 exec, exec, s[0:1]
	ds_read_b32 v14, v35 offset:4
	s_waitcnt lgkmcnt(1)
	ds_read_b32 v15, v34 offset:4
	s_waitcnt lgkmcnt(1)
	v_cmp_eq_f32_e64 s[0:1], v13, v14
	s_waitcnt lgkmcnt(0)
	v_cmp_gt_i32_e64 s[12:13], v4, v15
	v_cmp_lt_f32_e32 vcc, v13, v14
	s_and_b64 s[0:1], s[0:1], s[12:13]
	s_or_b64 s[0:1], vcc, s[0:1]
	s_and_b64 exec, exec, s[0:1]
	s_cbranch_execz .LBB5_119
; %bb.118:                              ;   in Loop: Header=BB5_5 Depth=1
	ds_write_b32 v35, v14
	ds_write_b32 v34, v15
.LBB5_119:                              ;   in Loop: Header=BB5_5 Depth=1
	s_or_b64 exec, exec, s[60:61]
.LBB5_120:                              ;   in Loop: Header=BB5_5 Depth=1
	s_and_saveexec_b64 s[0:1], s[10:11]
	s_cbranch_execz .LBB5_122
; %bb.121:                              ;   in Loop: Header=BB5_5 Depth=1
	ds_read_b32 v4, v5 offset:1024
	s_waitcnt lgkmcnt(0)
	ds_write_b32 v5, v4 offset:2064
.LBB5_122:                              ;   in Loop: Header=BB5_5 Depth=1
	s_or_b64 exec, exec, s[0:1]
	ds_read_b32 v16, v5 offset:2048
	s_waitcnt lgkmcnt(0)
	v_cmp_gt_i32_e32 vcc, 1, v16
	s_cbranch_vccnz .LBB5_165
; %bb.123:                              ;   in Loop: Header=BB5_5 Depth=1
	v_cmp_lt_i32_e32 vcc, v0, v16
	v_bfrev_b32_e32 v4, -2
	v_mov_b32_e32 v13, 0
	s_and_saveexec_b64 s[60:61], vcc
	s_cbranch_execz .LBB5_127
; %bb.124:                              ;   in Loop: Header=BB5_5 Depth=1
	v_lshl_add_u64 v[14:15], s[58:59], 3, v[8:9]
	v_bfrev_b32_e32 v4, -2
	v_mov_b32_e32 v13, 0
	s_mov_b64 s[62:63], 0
	v_mov_b32_e32 v17, v0
.LBB5_125:                              ;   Parent Loop BB5_5 Depth=1
                                        ; =>  This Inner Loop Header: Depth=2
	global_load_dwordx2 v[18:19], v[14:15], off
	v_cmp_eq_u32_e32 vcc, s73, v4
	v_add_u32_e32 v20, 1, v17
	v_add_u32_e32 v17, 0x100, v17
	v_cmp_ge_i32_e64 s[0:1], v17, v16
	v_lshl_add_u64 v[14:15], v[14:15], 0, s[50:51]
	s_waitcnt vmcnt(0)
	v_cmp_gt_f32_e64 s[12:13], 0, v19
	s_nop 1
	v_cndmask_b32_e64 v19, v19, -v19, s[12:13]
	v_cmp_gt_f32_e64 s[12:13], 0, v18
	s_nop 1
	v_cndmask_b32_e64 v18, v18, -v18, s[12:13]
	v_add_f32_e32 v18, v18, v19
	v_cmp_lt_f32_e64 s[12:13], v13, v18
	s_or_b64 vcc, s[12:13], vcc
	v_cndmask_b32_e32 v4, v4, v20, vcc
	s_or_b64 s[62:63], s[0:1], s[62:63]
	v_cndmask_b32_e32 v13, v13, v18, vcc
	s_andn2_b64 exec, exec, s[62:63]
	s_cbranch_execnz .LBB5_125
; %bb.126:                              ;   in Loop: Header=BB5_5 Depth=1
	s_or_b64 exec, exec, s[62:63]
.LBB5_127:                              ;   in Loop: Header=BB5_5 Depth=1
	s_or_b64 exec, exec, s[60:61]
	v_cmp_eq_u32_e32 vcc, 1, v16
	s_and_b64 vcc, exec, vcc
	ds_write_b32 v35, v13
	ds_write_b32 v34, v4
	s_waitcnt lgkmcnt(0)
	s_barrier
	s_cbranch_vccnz .LBB5_162
; %bb.128:                              ;   in Loop: Header=BB5_5 Depth=1
	s_and_saveexec_b64 s[12:13], s[2:3]
	s_cbranch_execz .LBB5_134
; %bb.129:                              ;   in Loop: Header=BB5_5 Depth=1
	ds_read_b32 v14, v35 offset:512
	ds_read_b32 v15, v34 offset:512
	s_waitcnt lgkmcnt(1)
	v_cmp_lt_f32_e64 s[60:61], v13, v14
	v_cmp_nlt_f32_e32 vcc, v13, v14
	s_and_saveexec_b64 s[62:63], vcc
	s_cbranch_execz .LBB5_131
; %bb.130:                              ;   in Loop: Header=BB5_5 Depth=1
	v_cmp_eq_f32_e32 vcc, v13, v14
	s_waitcnt lgkmcnt(0)
	v_cmp_gt_i32_e64 s[0:1], v4, v15
	s_and_b64 s[0:1], vcc, s[0:1]
	s_andn2_b64 s[60:61], s[60:61], exec
	s_and_b64 s[0:1], s[0:1], exec
	s_or_b64 s[60:61], s[60:61], s[0:1]
.LBB5_131:                              ;   in Loop: Header=BB5_5 Depth=1
	s_or_b64 exec, exec, s[62:63]
	s_and_saveexec_b64 s[0:1], s[60:61]
	s_cbranch_execz .LBB5_133
; %bb.132:                              ;   in Loop: Header=BB5_5 Depth=1
	v_mov_b32_e32 v13, v14
	s_waitcnt lgkmcnt(0)
	v_mov_b32_e32 v4, v15
	ds_write_b32 v35, v14
	ds_write_b32 v34, v15
.LBB5_133:                              ;   in Loop: Header=BB5_5 Depth=1
	s_or_b64 exec, exec, s[0:1]
.LBB5_134:                              ;   in Loop: Header=BB5_5 Depth=1
	s_or_b64 exec, exec, s[12:13]
	s_waitcnt lgkmcnt(0)
	s_barrier
	s_and_saveexec_b64 s[60:61], s[4:5]
	s_cbranch_execz .LBB5_161
; %bb.135:                              ;   in Loop: Header=BB5_5 Depth=1
	ds_read_b32 v14, v35 offset:256
	ds_read_b32 v15, v34 offset:256
	s_waitcnt lgkmcnt(1)
	v_cmp_lt_f32_e64 s[12:13], v13, v14
	v_cmp_nlt_f32_e32 vcc, v13, v14
	s_and_saveexec_b64 s[62:63], vcc
	s_cbranch_execz .LBB5_137
; %bb.136:                              ;   in Loop: Header=BB5_5 Depth=1
	v_cmp_eq_f32_e32 vcc, v13, v14
	s_waitcnt lgkmcnt(0)
	v_cmp_gt_i32_e64 s[0:1], v4, v15
	s_and_b64 s[0:1], vcc, s[0:1]
	s_andn2_b64 s[12:13], s[12:13], exec
	s_and_b64 s[0:1], s[0:1], exec
	s_or_b64 s[12:13], s[12:13], s[0:1]
.LBB5_137:                              ;   in Loop: Header=BB5_5 Depth=1
	s_or_b64 exec, exec, s[62:63]
	s_and_saveexec_b64 s[0:1], s[12:13]
	s_cbranch_execz .LBB5_139
; %bb.138:                              ;   in Loop: Header=BB5_5 Depth=1
	s_waitcnt lgkmcnt(0)
	v_mov_b32_e32 v4, v15
	v_mov_b32_e32 v13, v14
	ds_write_b32 v35, v14
	ds_write_b32 v34, v15
.LBB5_139:                              ;   in Loop: Header=BB5_5 Depth=1
	s_or_b64 exec, exec, s[0:1]
	ds_read_b32 v14, v35 offset:128
	s_waitcnt lgkmcnt(1)
	ds_read_b32 v15, v34 offset:128
	s_waitcnt lgkmcnt(1)
	v_cmp_lt_f32_e64 s[12:13], v13, v14
	v_cmp_nlt_f32_e32 vcc, v13, v14
	s_and_saveexec_b64 s[62:63], vcc
	s_cbranch_execz .LBB5_141
; %bb.140:                              ;   in Loop: Header=BB5_5 Depth=1
	v_cmp_eq_f32_e32 vcc, v13, v14
	s_waitcnt lgkmcnt(0)
	v_cmp_gt_i32_e64 s[0:1], v4, v15
	s_and_b64 s[0:1], vcc, s[0:1]
	s_andn2_b64 s[12:13], s[12:13], exec
	s_and_b64 s[0:1], s[0:1], exec
	s_or_b64 s[12:13], s[12:13], s[0:1]
.LBB5_141:                              ;   in Loop: Header=BB5_5 Depth=1
	s_or_b64 exec, exec, s[62:63]
	s_and_saveexec_b64 s[0:1], s[12:13]
	s_cbranch_execz .LBB5_143
; %bb.142:                              ;   in Loop: Header=BB5_5 Depth=1
	s_waitcnt lgkmcnt(0)
	v_mov_b32_e32 v4, v15
	v_mov_b32_e32 v13, v14
	ds_write_b32 v35, v14
	ds_write_b32 v34, v15
.LBB5_143:                              ;   in Loop: Header=BB5_5 Depth=1
	s_or_b64 exec, exec, s[0:1]
	ds_read_b32 v14, v35 offset:64
	s_waitcnt lgkmcnt(1)
	;; [unrolled: 28-line block ×6, first 2 shown]
	ds_read_b32 v15, v34 offset:4
	s_waitcnt lgkmcnt(1)
	v_cmp_eq_f32_e64 s[0:1], v13, v14
	s_waitcnt lgkmcnt(0)
	v_cmp_gt_i32_e64 s[12:13], v4, v15
	v_cmp_lt_f32_e32 vcc, v13, v14
	s_and_b64 s[0:1], s[0:1], s[12:13]
	s_or_b64 s[0:1], vcc, s[0:1]
	s_and_b64 exec, exec, s[0:1]
	s_cbranch_execz .LBB5_161
; %bb.160:                              ;   in Loop: Header=BB5_5 Depth=1
	ds_write_b32 v35, v14
	ds_write_b32 v34, v15
.LBB5_161:                              ;   in Loop: Header=BB5_5 Depth=1
	s_or_b64 exec, exec, s[60:61]
.LBB5_162:                              ;   in Loop: Header=BB5_5 Depth=1
	s_and_saveexec_b64 s[0:1], s[10:11]
	s_cbranch_execz .LBB5_164
; %bb.163:                              ;   in Loop: Header=BB5_5 Depth=1
	ds_read_b32 v4, v5 offset:2064
	ds_read_b32 v13, v5 offset:1024
	s_waitcnt lgkmcnt(0)
	v_cmp_lt_f32_e32 vcc, v4, v13
	s_nop 1
	v_cndmask_b32_e32 v4, v4, v13, vcc
	ds_write_b32 v5, v4 offset:2064
.LBB5_164:                              ;   in Loop: Header=BB5_5 Depth=1
	s_or_b64 exec, exec, s[0:1]
.LBB5_165:                              ;   in Loop: Header=BB5_5 Depth=1
	s_waitcnt lgkmcnt(0)
	s_barrier
	ds_read_b64 v[14:15], v5 offset:2056
	ds_read_b32 v4, v5 offset:2064
	s_waitcnt lgkmcnt(1)
	v_mul_f32_e32 v17, 0x3f23f07b, v15
	s_waitcnt lgkmcnt(0)
	v_div_scale_f32 v13, s[0:1], v4, v4, v15
	v_rcp_f32_e32 v16, v13
	s_nop 0
	v_fma_f32 v18, -v13, v16, 1.0
	v_fmac_f32_e32 v16, v18, v16
	v_div_scale_f32 v18, vcc, v15, v4, v15
	v_mul_f32_e32 v19, v18, v16
	v_fma_f32 v20, -v13, v19, v18
	v_fmac_f32_e32 v19, v20, v16
	v_fma_f32 v13, -v13, v19, v18
	v_div_fmas_f32 v13, v13, v16, v19
	v_div_fixup_f32 v13, v13, v4, v15
	v_mul_f32_e32 v13, v17, v13
	v_cmp_ge_f32_e32 vcc, v14, v13
	s_cbranch_vccnz .LBB5_171
; %bb.166:                              ;   in Loop: Header=BB5_5 Depth=1
	ds_read_b32 v13, v5 offset:2048
	v_mul_f32_e32 v4, 0x3f23f07b, v4
	s_waitcnt lgkmcnt(0)
	v_readfirstlane_b32 s0, v13
	s_add_i32 s0, s0, s58
	s_ashr_i32 s1, s0, 31
	s_lshl_b64 s[0:1], s[0:1], 3
	s_add_u32 s0, s16, s0
	s_addc_u32 s1, s17, s1
	global_load_dwordx2 v[14:15], v5, s[0:1]
	v_readfirstlane_b32 s57, v13
	s_waitcnt vmcnt(0)
	v_cmp_gt_f32_e32 vcc, 0, v15
	s_nop 1
	v_cndmask_b32_e64 v13, v15, -v15, vcc
	v_cmp_gt_f32_e32 vcc, 0, v14
	s_nop 1
	v_cndmask_b32_e64 v14, v14, -v14, vcc
	v_add_f32_e32 v13, v14, v13
	v_cmp_nge_f32_e32 vcc, v13, v4
	s_cbranch_vccnz .LBB5_191
; %bb.167:                              ;   in Loop: Header=BB5_5 Depth=1
	s_and_saveexec_b64 s[0:1], s[8:9]
	s_cbranch_execz .LBB5_170
; %bb.168:                              ;   in Loop: Header=BB5_5 Depth=1
	v_add_u32_e32 v14, s56, v0
	v_add_u32_e32 v16, s58, v0
	v_ashrrev_i32_e32 v15, 31, v14
	v_ashrrev_i32_e32 v17, 31, v16
	v_lshl_add_u64 v[14:15], v[14:15], 3, s[16:17]
	v_lshl_add_u64 v[16:17], v[16:17], 3, s[16:17]
	s_mov_b64 s[8:9], 0
	v_mov_b32_e32 v4, v0
.LBB5_169:                              ;   Parent Loop BB5_5 Depth=1
                                        ; =>  This Inner Loop Header: Depth=2
	global_load_dwordx2 v[18:19], v[16:17], off
	v_add_u32_e32 v4, 0x100, v4
	v_cmp_lt_i32_e32 vcc, s14, v4
	v_lshl_add_u64 v[16:17], v[16:17], 0, s[50:51]
	s_or_b64 s[8:9], vcc, s[8:9]
	s_waitcnt vmcnt(0)
	global_store_dwordx2 v[14:15], v[18:19], off
	v_lshl_add_u64 v[14:15], v[14:15], 0, s[50:51]
	s_andn2_b64 exec, exec, s[8:9]
	s_cbranch_execnz .LBB5_169
.LBB5_170:                              ;   in Loop: Header=BB5_5 Depth=1
	s_or_b64 exec, exec, s[0:1]
	s_mov_b64 s[0:1], -1
	s_mov_b32 s8, -1
	s_barrier
	s_add_i32 s8, s8, s14
	s_add_i32 s15, s8, 1
	s_cmp_eq_u32 s57, s15
	s_cbranch_scc0 .LBB5_172
	s_branch .LBB5_187
.LBB5_171:                              ;   in Loop: Header=BB5_5 Depth=1
	s_mov_b64 s[0:1], -1
	s_mov_b32 s8, -1
	s_mov_b32 s57, s14
	s_add_i32 s8, s8, s14
	s_add_i32 s15, s8, 1
	s_cmp_eq_u32 s57, s15
	s_cbranch_scc1 .LBB5_187
.LBB5_172:                              ;   in Loop: Header=BB5_5 Depth=1
	s_and_saveexec_b64 s[12:13], s[10:11]
	s_cbranch_execz .LBB5_174
; %bb.173:                              ;   in Loop: Header=BB5_5 Depth=1
	s_mul_i32 s58, s15, s69
	s_ashr_i32 s59, s58, 31
	s_lshl_b64 s[58:59], s[58:59], 3
	s_add_u32 s58, s28, s58
	s_addc_u32 s59, s29, s59
	global_load_dwordx2 v[14:15], v5, s[58:59]
	s_mul_i32 s58, s57, s69
	s_ashr_i32 s59, s58, 31
	s_lshl_b64 s[58:59], s[58:59], 3
	s_add_u32 s58, s28, s58
	s_addc_u32 s59, s29, s59
	s_waitcnt vmcnt(0)
	global_store_dwordx2 v5, v[14:15], s[58:59]
.LBB5_174:                              ;   in Loop: Header=BB5_5 Depth=1
	s_or_b64 exec, exec, s[12:13]
	s_sub_i32 s60, s8, s57
	v_cmp_gt_i32_e32 vcc, s60, v0
	s_mul_i32 s9, s15, s25
	s_and_saveexec_b64 s[12:13], vcc
	s_cbranch_execz .LBB5_177
; %bb.175:                              ;   in Loop: Header=BB5_5 Depth=1
	v_add_u32_e32 v4, s57, v1
	s_add_i32 s61, s57, s9
	v_mul_lo_u32 v4, s25, v4
	v_add_u32_e32 v14, s57, v4
	s_add_i32 s61, s61, 1
	s_mov_b64 s[58:59], 0
	v_mov_b32_e32 v4, v0
.LBB5_176:                              ;   Parent Loop BB5_5 Depth=1
                                        ; =>  This Inner Loop Header: Depth=2
	v_add_u32_e32 v16, s61, v4
	v_ashrrev_i32_e32 v17, 31, v16
	v_lshl_add_u64 v[16:17], v[16:17], 3, s[28:29]
	global_load_dwordx2 v[16:17], v[16:17], off
	v_add_u32_e32 v4, 0x100, v4
	v_ashrrev_i32_e32 v15, 31, v14
	v_cmp_le_i32_e32 vcc, s60, v4
	v_lshl_add_u64 v[18:19], v[14:15], 3, s[28:29]
	v_add_u32_e32 v14, s71, v14
	s_or_b64 s[58:59], vcc, s[58:59]
	s_waitcnt vmcnt(0)
	global_store_dwordx2 v[18:19], v[16:17], off
	s_andn2_b64 exec, exec, s[58:59]
	s_cbranch_execnz .LBB5_176
.LBB5_177:                              ;   in Loop: Header=BB5_5 Depth=1
	s_or_b64 exec, exec, s[12:13]
	v_cmp_gt_i32_e32 vcc, s57, v0
	s_and_saveexec_b64 s[12:13], vcc
	s_cbranch_execz .LBB5_180
; %bb.178:                              ;   in Loop: Header=BB5_5 Depth=1
	s_mul_i32 s58, s57, s25
	v_add_u32_e32 v14, s58, v0
	v_add_u32_e32 v16, s9, v0
	v_ashrrev_i32_e32 v15, 31, v14
	v_ashrrev_i32_e32 v17, 31, v16
	v_lshl_add_u64 v[14:15], v[14:15], 3, s[42:43]
	v_lshl_add_u64 v[16:17], v[16:17], 3, s[42:43]
	s_mov_b64 s[58:59], 0
	v_mov_b32_e32 v4, v0
.LBB5_179:                              ;   Parent Loop BB5_5 Depth=1
                                        ; =>  This Inner Loop Header: Depth=2
	global_load_dwordx2 v[18:19], v[16:17], off
	v_add_u32_e32 v4, 0x100, v4
	v_cmp_le_i32_e32 vcc, s57, v4
	v_lshl_add_u64 v[16:17], v[16:17], 0, s[50:51]
	s_or_b64 s[58:59], vcc, s[58:59]
	s_waitcnt vmcnt(0)
	global_store_dwordx2 v[14:15], v[18:19], off
	v_lshl_add_u64 v[14:15], v[14:15], 0, s[50:51]
	s_andn2_b64 exec, exec, s[58:59]
	s_cbranch_execnz .LBB5_179
.LBB5_180:                              ;   in Loop: Header=BB5_5 Depth=1
	s_or_b64 exec, exec, s[12:13]
	s_not_b32 s9, s14
	s_add_i32 s60, s26, s9
	v_cmp_gt_i32_e32 vcc, s60, v0
	s_barrier
	s_and_saveexec_b64 s[12:13], vcc
	s_cbranch_execz .LBB5_183
; %bb.181:                              ;   in Loop: Header=BB5_5 Depth=1
	v_add_u32_e32 v4, s14, v1
	s_ashr_i32 s9, s8, 31
	v_mul_lo_u32 v14, s25, v4
	s_mov_b64 s[58:59], 0
	v_mov_b32_e32 v4, v0
.LBB5_182:                              ;   Parent Loop BB5_5 Depth=1
                                        ; =>  This Inner Loop Header: Depth=2
	v_add_u32_e32 v18, s57, v14
	v_ashrrev_i32_e32 v15, 31, v14
	v_ashrrev_i32_e32 v19, 31, v18
	v_lshl_add_u64 v[16:17], v[14:15], 0, s[8:9]
	v_lshl_add_u64 v[18:19], v[18:19], 3, s[28:29]
	;; [unrolled: 1-line block ×3, first 2 shown]
	global_load_dwordx2 v[20:21], v[18:19], off
	global_load_dwordx2 v[22:23], v[16:17], off offset:8
	v_add_u32_e32 v4, 0x100, v4
	v_cmp_le_i32_e32 vcc, s60, v4
	s_or_b64 s[58:59], vcc, s[58:59]
	v_add_u32_e32 v14, s71, v14
	s_waitcnt vmcnt(1)
	global_store_dwordx2 v[16:17], v[20:21], off offset:8
	s_waitcnt vmcnt(1)
	global_store_dwordx2 v[18:19], v[22:23], off
	s_andn2_b64 exec, exec, s[58:59]
	s_cbranch_execnz .LBB5_182
.LBB5_183:                              ;   in Loop: Header=BB5_5 Depth=1
	s_or_b64 exec, exec, s[12:13]
	s_sub_i32 s15, s26, s15
	v_cmp_gt_i32_e32 vcc, s15, v0
	s_and_saveexec_b64 s[12:13], vcc
	s_cbranch_execz .LBB5_186
; %bb.184:                              ;   in Loop: Header=BB5_5 Depth=1
	v_add_u32_e32 v4, s8, v3
	s_ashr_i32 s9, s8, 31
	v_mul_lo_u32 v14, s26, v4
	s_mov_b64 s[58:59], 0
	v_mov_b32_e32 v4, v0
.LBB5_185:                              ;   Parent Loop BB5_5 Depth=1
                                        ; =>  This Inner Loop Header: Depth=2
	v_add_u32_e32 v18, s57, v14
	v_ashrrev_i32_e32 v15, 31, v14
	v_ashrrev_i32_e32 v19, 31, v18
	v_lshl_add_u64 v[16:17], v[14:15], 0, s[8:9]
	v_lshl_add_u64 v[18:19], v[18:19], 3, s[16:17]
	;; [unrolled: 1-line block ×3, first 2 shown]
	global_load_dwordx2 v[20:21], v[18:19], off
	global_load_dwordx2 v[22:23], v[16:17], off offset:8
	v_add_u32_e32 v4, 0x100, v4
	v_cmp_le_i32_e32 vcc, s15, v4
	s_or_b64 s[58:59], vcc, s[58:59]
	v_add_u32_e32 v14, s72, v14
	s_waitcnt vmcnt(1)
	global_store_dwordx2 v[16:17], v[20:21], off offset:8
	s_waitcnt vmcnt(1)
	global_store_dwordx2 v[18:19], v[22:23], off
	s_andn2_b64 exec, exec, s[58:59]
	s_cbranch_execnz .LBB5_185
.LBB5_186:                              ;   in Loop: Header=BB5_5 Depth=1
	s_or_b64 exec, exec, s[12:13]
	s_barrier
.LBB5_187:                              ;   in Loop: Header=BB5_5 Depth=1
	s_xor_b64 s[0:1], s[0:1], -1
	s_mov_b64 s[8:9], -1
	s_and_b64 vcc, exec, s[0:1]
	s_cbranch_vccz .LBB5_209
; %bb.188:                              ;   in Loop: Header=BB5_5 Depth=1
	s_cmp_lt_i32 s14, 2
	s_cbranch_scc1 .LBB5_206
; %bb.189:                              ;   in Loop: Header=BB5_5 Depth=1
	s_ashr_i32 s1, s56, 31
	s_ashr_i32 s12, s14, 31
	s_add_u32 s0, s56, s14
	s_addc_u32 s1, s1, s12
	s_lshl_b64 s[0:1], s[0:1], 3
	s_add_u32 s0, s16, s0
	s_addc_u32 s1, s17, s1
	global_load_dwordx2 v[18:19], v5, s[0:1] offset:-8
	s_add_i32 s0, s56, s14
	s_ashr_i32 s1, s0, 31
	s_lshl_b64 s[0:1], s[0:1], 3
	s_add_u32 s0, s16, s0
	s_addc_u32 s1, s17, s1
	global_load_dwordx2 v[14:15], v5, s[0:1]
	s_waitcnt vmcnt(1)
	v_cmp_ngt_f32_e64 s[0:1], |v18|, |v19|
	s_and_b64 vcc, exec, s[0:1]
	s_waitcnt vmcnt(0)
	v_mov_b32_e32 v16, v15
	v_mov_b32_e32 v17, v14
	s_cbranch_vccz .LBB5_192
; %bb.190:                              ;   in Loop: Header=BB5_5 Depth=1
	v_div_scale_f32 v4, s[8:9], v19, v19, v18
	v_rcp_f32_e32 v13, v4
	v_div_scale_f32 v14, vcc, v18, v19, v18
	v_fma_f32 v15, -v4, v13, 1.0
	v_fmac_f32_e32 v13, v15, v13
	v_mul_f32_e32 v15, v14, v13
	v_fma_f32 v20, -v4, v15, v14
	v_fmac_f32_e32 v15, v20, v13
	v_fma_f32 v4, -v4, v15, v14
	v_div_fmas_f32 v4, v4, v13, v15
	v_div_fixup_f32 v4, v4, v19, v18
	v_fma_f32 v13, v18, v4, v19
	v_div_scale_f32 v14, s[8:9], v13, v13, 1.0
	v_rcp_f32_e32 v15, v14
	s_nop 0
	v_fma_f32 v20, -v14, v15, 1.0
	v_fmac_f32_e32 v15, v20, v15
	v_div_scale_f32 v20, vcc, 1.0, v13, 1.0
	v_mul_f32_e32 v21, v20, v15
	v_fma_f32 v22, -v14, v21, v20
	v_fmac_f32_e32 v21, v22, v15
	v_fma_f32 v14, -v14, v21, v20
	v_div_fmas_f32 v14, v14, v15, v21
	v_pk_fma_f32 v[20:21], v[4:5], v[16:17], v[16:17] op_sel:[0,0,1] op_sel_hi:[0,1,0]
	v_pk_fma_f32 v[22:23], v[4:5], v[16:17], v[16:17] op_sel:[0,0,1] op_sel_hi:[0,1,0] neg_lo:[0,0,1] neg_hi:[0,0,1]
	v_div_fixup_f32 v14, v14, v13, 1.0
	v_mov_b32_e32 v23, v21
	v_pk_mul_f32 v[14:15], v[14:15], v[22:23] op_sel_hi:[0,1]
	s_cbranch_execz .LBB5_193
	s_branch .LBB5_194
.LBB5_191:                              ;   in Loop: Header=BB5_5 Depth=1
	s_mov_b64 s[0:1], 0
	s_mov_b32 s8, -2
	s_add_i32 s8, s8, s14
	s_add_i32 s15, s8, 1
	s_cmp_eq_u32 s57, s15
	s_cbranch_scc0 .LBB5_172
	s_branch .LBB5_187
.LBB5_192:                              ;   in Loop: Header=BB5_5 Depth=1
                                        ; implicit-def: $vgpr14_vgpr15
	s_andn2_b64 vcc, exec, s[8:9]
	s_cbranch_vccnz .LBB5_194
.LBB5_193:                              ;   in Loop: Header=BB5_5 Depth=1
	v_div_scale_f32 v4, s[8:9], v18, v18, v19
	v_rcp_f32_e32 v13, v4
	v_div_scale_f32 v14, vcc, v19, v18, v19
	v_fma_f32 v15, -v4, v13, 1.0
	v_fmac_f32_e32 v13, v15, v13
	v_mul_f32_e32 v15, v14, v13
	v_fma_f32 v20, -v4, v15, v14
	v_fmac_f32_e32 v15, v20, v13
	v_fma_f32 v4, -v4, v15, v14
	v_div_fmas_f32 v4, v4, v13, v15
	v_div_fixup_f32 v4, v4, v18, v19
	v_fma_f32 v13, v19, v4, v18
	v_div_scale_f32 v14, s[8:9], v13, v13, 1.0
	v_rcp_f32_e32 v15, v14
	s_nop 0
	v_fma_f32 v20, -v14, v15, 1.0
	v_fmac_f32_e32 v15, v20, v15
	v_div_scale_f32 v20, vcc, 1.0, v13, 1.0
	v_mul_f32_e32 v21, v20, v15
	v_fma_f32 v22, -v14, v21, v20
	v_fmac_f32_e32 v21, v22, v15
	v_fma_f32 v14, -v14, v21, v20
	v_div_fmas_f32 v14, v14, v15, v21
	v_pk_fma_f32 v[20:21], v[4:5], v[16:17], v[16:17] op_sel:[0,1,0] op_sel_hi:[0,0,1]
	v_pk_fma_f32 v[16:17], v[4:5], v[16:17], v[16:17] op_sel:[0,1,0] op_sel_hi:[0,0,1] neg_lo:[1,0,0] neg_hi:[1,0,0]
	v_div_fixup_f32 v14, v14, v13, 1.0
	v_mov_b32_e32 v17, v21
	v_pk_mul_f32 v[14:15], v[14:15], v[16:17] op_sel_hi:[0,1]
.LBB5_194:                              ;   in Loop: Header=BB5_5 Depth=1
	s_add_i32 s8, s74, -1
	s_mul_i32 s8, s8, s26
	s_ashr_i32 s9, s8, 31
	s_add_u32 s58, s8, s14
	s_addc_u32 s59, s9, s12
	s_lshl_b64 s[12:13], s[58:59], 3
	s_add_u32 s12, s16, s12
	s_addc_u32 s13, s17, s13
	global_load_dwordx2 v[16:17], v5, s[12:13] offset:-8
	s_and_b64 vcc, exec, s[0:1]
	s_waitcnt vmcnt(0)
	v_mov_b32_e32 v20, v17
	v_mov_b32_e32 v21, v16
	s_cbranch_vccz .LBB5_196
; %bb.195:                              ;   in Loop: Header=BB5_5 Depth=1
	v_div_scale_f32 v4, s[0:1], v19, v19, v18
	v_rcp_f32_e32 v13, v4
	v_div_scale_f32 v16, vcc, v18, v19, v18
	v_fma_f32 v17, -v4, v13, 1.0
	v_fmac_f32_e32 v13, v17, v13
	v_mul_f32_e32 v17, v16, v13
	v_fma_f32 v22, -v4, v17, v16
	v_fmac_f32_e32 v17, v22, v13
	v_fma_f32 v4, -v4, v17, v16
	v_div_fmas_f32 v4, v4, v13, v17
	v_div_fixup_f32 v4, v4, v19, v18
	v_fma_f32 v13, v18, v4, v19
	v_div_scale_f32 v16, s[0:1], v13, v13, 1.0
	v_rcp_f32_e32 v17, v16
	s_nop 0
	v_fma_f32 v22, -v16, v17, 1.0
	v_fmac_f32_e32 v17, v22, v17
	v_div_scale_f32 v22, vcc, 1.0, v13, 1.0
	v_mul_f32_e32 v23, v22, v17
	v_fma_f32 v24, -v16, v23, v22
	v_fmac_f32_e32 v23, v24, v17
	v_fma_f32 v16, -v16, v23, v22
	v_div_fmas_f32 v16, v16, v17, v23
	v_pk_fma_f32 v[22:23], v[4:5], v[20:21], v[20:21] op_sel:[0,0,1] op_sel_hi:[1,1,0] neg_lo:[0,0,1] neg_hi:[0,0,1]
	v_pk_fma_f32 v[24:25], v[4:5], v[20:21], v[20:21] op_sel:[0,0,1] op_sel_hi:[0,1,0]
	v_div_fixup_f32 v16, v16, v13, 1.0
	v_mov_b32_e32 v23, v25
	v_pk_mul_f32 v[16:17], v[16:17], v[22:23] op_sel_hi:[0,1]
	s_cbranch_execz .LBB5_197
	s_branch .LBB5_198
.LBB5_196:                              ;   in Loop: Header=BB5_5 Depth=1
                                        ; implicit-def: $vgpr16_vgpr17
.LBB5_197:                              ;   in Loop: Header=BB5_5 Depth=1
	v_div_scale_f32 v4, s[0:1], v18, v18, v19
	v_rcp_f32_e32 v13, v4
	v_div_scale_f32 v16, vcc, v19, v18, v19
	v_fma_f32 v17, -v4, v13, 1.0
	v_fmac_f32_e32 v13, v17, v13
	v_mul_f32_e32 v17, v16, v13
	v_fma_f32 v22, -v4, v17, v16
	v_fmac_f32_e32 v17, v22, v13
	v_fma_f32 v4, -v4, v17, v16
	v_div_fmas_f32 v4, v4, v13, v17
	v_div_fixup_f32 v4, v4, v18, v19
	v_fma_f32 v13, v19, v4, v18
	v_div_scale_f32 v16, s[0:1], v13, v13, 1.0
	v_rcp_f32_e32 v17, v16
	s_nop 0
	v_fma_f32 v22, -v16, v17, 1.0
	v_fmac_f32_e32 v17, v22, v17
	v_div_scale_f32 v22, vcc, 1.0, v13, 1.0
	v_mul_f32_e32 v23, v22, v17
	v_fma_f32 v24, -v16, v23, v22
	v_fmac_f32_e32 v23, v24, v17
	v_fma_f32 v16, -v16, v23, v22
	v_div_fmas_f32 v16, v16, v17, v23
	v_pk_fma_f32 v[22:23], v[4:5], v[20:21], v[20:21] op_sel:[0,1,0] op_sel_hi:[1,0,1] neg_lo:[1,0,0] neg_hi:[1,0,0]
	v_pk_fma_f32 v[20:21], v[4:5], v[20:21], v[20:21] op_sel:[0,1,0] op_sel_hi:[0,0,1]
	v_div_fixup_f32 v16, v16, v13, 1.0
	v_mov_b32_e32 v23, v21
	v_pk_mul_f32 v[16:17], v[16:17], v[22:23] op_sel_hi:[0,1]
.LBB5_198:                              ;   in Loop: Header=BB5_5 Depth=1
	v_mul_f32_e32 v4, v15, v17
	v_pk_fma_f32 v[20:21], v[14:15], v[16:17], v[4:5] op_sel_hi:[1,1,0] neg_lo:[1,0,0] neg_hi:[1,0,0]
	v_pk_mul_f32 v[22:23], v[14:15], v[16:17] op_sel_hi:[0,1]
	v_pk_mul_f32 v[24:25], v[14:15], v[16:17] op_sel_hi:[1,0]
	v_mov_b32_e32 v13, v23
	v_mov_b32_e32 v21, v25
	v_pk_add_f32 v[20:21], v[20:21], v[12:13]
	s_nop 0
	v_pk_mul_f32 v[22:23], v[18:19], v[20:21]
	v_pk_mul_f32 v[18:19], v[18:19], v[20:21] op_sel:[0,1] op_sel_hi:[1,0]
	v_sub_f32_e32 v4, v22, v23
	v_add_f32_e32 v13, v18, v19
	v_cmp_ngt_f32_e64 s[0:1], |v4|, |v13|
	s_and_b64 vcc, exec, s[0:1]
	s_cbranch_vccz .LBB5_200
; %bb.199:                              ;   in Loop: Header=BB5_5 Depth=1
	v_div_scale_f32 v18, s[0:1], v13, v13, v4
	v_rcp_f32_e32 v19, v18
	v_div_scale_f32 v20, vcc, v4, v13, v4
	v_fma_f32 v21, -v18, v19, 1.0
	v_fmac_f32_e32 v19, v21, v19
	v_mul_f32_e32 v21, v20, v19
	v_fma_f32 v22, -v18, v21, v20
	v_fmac_f32_e32 v21, v22, v19
	v_fma_f32 v18, -v18, v21, v20
	v_div_fmas_f32 v18, v18, v19, v21
	v_div_fixup_f32 v19, v18, v13, v4
	v_fma_f32 v18, v4, v19, v13
	v_div_scale_f32 v20, s[0:1], v18, v18, 1.0
	v_rcp_f32_e32 v21, v20
	s_nop 0
	v_fma_f32 v22, -v20, v21, 1.0
	v_fmac_f32_e32 v21, v22, v21
	v_div_scale_f32 v22, vcc, 1.0, v18, 1.0
	v_mul_f32_e32 v23, v22, v21
	v_fma_f32 v24, -v20, v23, v22
	v_fmac_f32_e32 v23, v24, v21
	v_fma_f32 v20, -v20, v23, v22
	v_div_fmas_f32 v20, v20, v21, v23
	v_div_fixup_f32 v20, v20, v18, 1.0
	v_mul_f32_e32 v18, 0, v19
	v_pk_add_f32 v[18:19], v[18:19], s[52:53]
	s_nop 0
	v_pk_mul_f32 v[18:19], v[18:19], v[20:21] op_sel_hi:[1,0]
	s_cbranch_execz .LBB5_201
	s_branch .LBB5_202
.LBB5_200:                              ;   in Loop: Header=BB5_5 Depth=1
                                        ; implicit-def: $vgpr18_vgpr19
.LBB5_201:                              ;   in Loop: Header=BB5_5 Depth=1
	v_div_scale_f32 v18, s[0:1], v4, v4, v13
	v_rcp_f32_e32 v19, v18
	v_div_scale_f32 v20, vcc, v13, v4, v13
	v_fma_f32 v21, -v18, v19, 1.0
	v_fmac_f32_e32 v19, v21, v19
	v_mul_f32_e32 v21, v20, v19
	v_fma_f32 v22, -v18, v21, v20
	v_fmac_f32_e32 v21, v22, v19
	v_fma_f32 v18, -v18, v21, v20
	v_div_fmas_f32 v18, v18, v19, v21
	v_div_fixup_f32 v18, v18, v4, v13
	v_fmac_f32_e32 v4, v13, v18
	v_div_scale_f32 v13, s[0:1], v4, v4, 1.0
	v_rcp_f32_e32 v19, v13
	s_nop 0
	v_fma_f32 v20, -v13, v19, 1.0
	v_fmac_f32_e32 v19, v20, v19
	v_div_scale_f32 v20, vcc, 1.0, v4, 1.0
	v_mul_f32_e32 v21, v20, v19
	v_fma_f32 v22, -v13, v21, v20
	v_fmac_f32_e32 v21, v22, v19
	v_fma_f32 v13, -v13, v21, v20
	v_div_fmas_f32 v13, v13, v19, v21
	v_div_fixup_f32 v4, v13, v4, 1.0
	v_mul_f32_e32 v13, 0, v18
	v_sub_f32_e32 v18, 0, v18
	v_add_f32_e32 v19, 1.0, v13
	v_pk_mul_f32 v[18:19], v[18:19], v[4:5] op_sel_hi:[1,0]
.LBB5_202:                              ;   in Loop: Header=BB5_5 Depth=1
	s_add_i32 s12, s14, -2
	v_cmp_ge_i32_e32 vcc, s12, v0
	s_and_saveexec_b64 s[0:1], vcc
	s_cbranch_execz .LBB5_205
; %bb.203:                              ;   in Loop: Header=BB5_5 Depth=1
	s_add_i32 s9, s14, -1
	s_mul_i32 s9, s9, s25
	s_mul_i32 s13, s14, s25
	v_add_u32_e32 v26, s13, v0
	v_add_u32_e32 v28, s9, v0
	;; [unrolled: 1-line block ×4, first 2 shown]
	v_ashrrev_i32_e32 v27, 31, v26
	v_ashrrev_i32_e32 v29, 31, v28
	;; [unrolled: 1-line block ×4, first 2 shown]
	v_mov_b32_e32 v20, v18
	v_mov_b32_e32 v21, v18
	;; [unrolled: 1-line block ×9, first 2 shown]
	v_lshl_add_u64 v[26:27], v[26:27], 3, s[42:43]
	v_lshl_add_u64 v[28:29], v[28:29], 3, s[42:43]
	;; [unrolled: 1-line block ×4, first 2 shown]
	s_mov_b64 s[8:9], 0
	v_mov_b32_e32 v4, v0
.LBB5_204:                              ;   Parent Loop BB5_5 Depth=1
                                        ; =>  This Inner Loop Header: Depth=2
	global_load_dwordx2 v[36:37], v[32:33], off
	global_load_dwordx2 v[38:39], v[30:31], off
	v_add_u32_e32 v4, 0x100, v4
	v_cmp_lt_i32_e32 vcc, s12, v4
	s_or_b64 s[8:9], vcc, s[8:9]
	s_waitcnt vmcnt(1)
	v_pk_mul_f32 v[40:41], v[22:23], v[36:37] op_sel:[0,1] op_sel_hi:[1,0]
	s_nop 0
	v_pk_fma_f32 v[42:43], v[14:15], v[36:37], v[40:41] neg_lo:[0,0,1] neg_hi:[0,0,1]
	v_pk_fma_f32 v[36:37], v[14:15], v[36:37], v[40:41]
	s_nop 0
	v_mov_b32_e32 v43, v37
	s_waitcnt vmcnt(0)
	v_pk_add_f32 v[36:37], v[42:43], v[38:39] neg_lo:[0,1] neg_hi:[0,1]
	s_nop 0
	v_pk_mul_f32 v[38:39], v[20:21], v[36:37]
	s_nop 0
	v_pk_fma_f32 v[40:41], v[18:19], v[36:37], v[38:39] op_sel:[0,0,1] op_sel_hi:[1,1,0] neg_lo:[0,0,1] neg_hi:[0,0,1]
	v_pk_fma_f32 v[36:37], v[18:19], v[36:37], v[38:39] op_sel:[0,0,1] op_sel_hi:[1,1,0]
	s_nop 0
	v_mov_b32_e32 v41, v37
	global_store_dwordx2 v[28:29], v[40:41], off
	global_load_dwordx2 v[36:37], v[30:31], off
	global_load_dwordx2 v[38:39], v[32:33], off
	v_lshl_add_u64 v[28:29], v[28:29], 0, s[50:51]
	v_lshl_add_u64 v[30:31], v[30:31], 0, s[50:51]
	;; [unrolled: 1-line block ×3, first 2 shown]
	s_waitcnt vmcnt(1)
	v_pk_mul_f32 v[40:41], v[24:25], v[36:37] op_sel:[0,1] op_sel_hi:[1,0]
	s_nop 0
	v_pk_fma_f32 v[42:43], v[16:17], v[36:37], v[40:41] neg_lo:[0,0,1] neg_hi:[0,0,1]
	v_pk_fma_f32 v[36:37], v[16:17], v[36:37], v[40:41]
	s_nop 0
	v_mov_b32_e32 v43, v37
	s_waitcnt vmcnt(0)
	v_pk_add_f32 v[36:37], v[42:43], v[38:39] neg_lo:[0,1] neg_hi:[0,1]
	s_nop 0
	v_pk_mul_f32 v[38:39], v[20:21], v[36:37]
	s_nop 0
	v_pk_fma_f32 v[40:41], v[18:19], v[36:37], v[38:39] op_sel:[0,0,1] op_sel_hi:[1,1,0] neg_lo:[0,0,1] neg_hi:[0,0,1]
	v_pk_fma_f32 v[36:37], v[18:19], v[36:37], v[38:39] op_sel:[0,0,1] op_sel_hi:[1,1,0]
	s_nop 0
	v_mov_b32_e32 v41, v37
	global_store_dwordx2 v[26:27], v[40:41], off
	v_lshl_add_u64 v[26:27], v[26:27], 0, s[50:51]
	s_andn2_b64 exec, exec, s[8:9]
	s_cbranch_execnz .LBB5_204
.LBB5_205:                              ;   in Loop: Header=BB5_5 Depth=1
	s_or_b64 exec, exec, s[0:1]
.LBB5_206:                              ;   in Loop: Header=BB5_5 Depth=1
	s_and_saveexec_b64 s[0:1], s[10:11]
	s_cbranch_execz .LBB5_208
; %bb.207:                              ;   in Loop: Header=BB5_5 Depth=1
	s_add_i32 s8, s74, -1
	s_mul_i32 s8, s8, s26
	s_add_i32 s12, s14, -1
	s_ashr_i32 s9, s8, 31
	s_ashr_i32 s15, s14, 31
	s_add_u32 s8, s8, s14
	s_addc_u32 s9, s9, s15
	s_lshl_b64 s[8:9], s[8:9], 3
	s_add_u32 s8, s16, s8
	s_addc_u32 s9, s17, s9
	global_load_dwordx2 v[14:15], v5, s[8:9] offset:-8
	s_mul_i32 s8, s12, s69
	s_ashr_i32 s9, s8, 31
	s_lshl_b64 s[8:9], s[8:9], 3
	s_add_u32 s8, s28, s8
	s_addc_u32 s9, s29, s9
	s_ashr_i32 s13, s56, 31
	s_add_u32 s12, s56, s14
	s_addc_u32 s13, s13, s15
	s_lshl_b64 s[12:13], s[12:13], 3
	s_add_u32 s12, s16, s12
	s_addc_u32 s13, s17, s13
	s_mul_i32 s58, s14, s25
	s_waitcnt vmcnt(0)
	global_store_dwordx2 v5, v[14:15], s[8:9]
	global_load_dwordx2 v[14:15], v5, s[12:13] offset:-8
	s_ashr_i32 s9, s58, 31
	s_add_u32 s8, s14, s58
	s_addc_u32 s9, s15, s9
	s_lshl_b64 s[8:9], s[8:9], 3
	s_add_u32 s8, s28, s8
	s_addc_u32 s9, s29, s9
	s_add_i32 s12, s56, s14
	s_ashr_i32 s13, s12, 31
	s_lshl_b64 s[12:13], s[12:13], 3
	s_add_u32 s12, s16, s12
	s_addc_u32 s13, s17, s13
	s_waitcnt vmcnt(0)
	global_store_dwordx2 v5, v[14:15], s[8:9] offset:-8
	global_load_dwordx2 v[14:15], v5, s[12:13]
	s_add_i32 s8, s58, s14
	s_ashr_i32 s9, s8, 31
	s_lshl_b64 s[8:9], s[8:9], 3
	s_add_u32 s8, s28, s8
	s_addc_u32 s9, s29, s9
	s_waitcnt vmcnt(0)
	global_store_dwordx2 v5, v[14:15], s[8:9]
.LBB5_208:                              ;   in Loop: Header=BB5_5 Depth=1
	s_or_b64 exec, exec, s[0:1]
	s_mov_b64 s[8:9], 0
	s_barrier
.LBB5_209:                              ;   in Loop: Header=BB5_5 Depth=1
	s_mov_b64 s[0:1], 0
	s_mov_b32 s12, -2
	s_and_b64 vcc, exec, s[8:9]
	s_mov_b64 s[8:9], 0
	s_cbranch_vccz .LBB5_220
; %bb.210:                              ;   in Loop: Header=BB5_5 Depth=1
	s_add_i32 s8, s56, s14
	s_ashr_i32 s9, s8, 31
	s_lshl_b64 s[8:9], s[8:9], 3
	s_add_u32 s8, s16, s8
	s_addc_u32 s9, s17, s9
	global_load_dwordx2 v[14:15], v5, s[8:9]
	s_waitcnt vmcnt(0)
	v_cmp_ngt_f32_e64 s[8:9], |v14|, |v15|
	s_and_b64 vcc, exec, s[8:9]
	s_cbranch_vccz .LBB5_212
; %bb.211:                              ;   in Loop: Header=BB5_5 Depth=1
	v_div_scale_f32 v4, s[8:9], v15, v15, v14
	v_rcp_f32_e32 v13, v4
	v_div_scale_f32 v16, vcc, v14, v15, v14
	v_fma_f32 v17, -v4, v13, 1.0
	v_fmac_f32_e32 v13, v17, v13
	v_mul_f32_e32 v17, v16, v13
	v_fma_f32 v18, -v4, v17, v16
	v_fmac_f32_e32 v17, v18, v13
	v_fma_f32 v4, -v4, v17, v16
	v_div_fmas_f32 v4, v4, v13, v17
	v_div_fixup_f32 v17, v4, v15, v14
	v_fma_f32 v4, v14, v17, v15
	v_div_scale_f32 v13, s[8:9], v4, v4, 1.0
	v_rcp_f32_e32 v16, v13
	s_nop 0
	v_fma_f32 v18, -v13, v16, 1.0
	v_fmac_f32_e32 v16, v18, v16
	v_div_scale_f32 v18, vcc, 1.0, v4, 1.0
	v_mul_f32_e32 v19, v18, v16
	v_fma_f32 v20, -v13, v19, v18
	v_fmac_f32_e32 v19, v20, v16
	v_fma_f32 v13, -v13, v19, v18
	v_div_fmas_f32 v13, v13, v16, v19
	v_mul_f32_e32 v16, 0, v17
	v_div_fixup_f32 v4, v13, v4, 1.0
	v_pk_add_f32 v[16:17], v[16:17], s[52:53]
	s_nop 0
	v_pk_mul_f32 v[16:17], v[16:17], v[4:5] op_sel_hi:[1,0]
	s_cbranch_execz .LBB5_213
	s_branch .LBB5_214
.LBB5_212:                              ;   in Loop: Header=BB5_5 Depth=1
                                        ; implicit-def: $vgpr16_vgpr17
.LBB5_213:                              ;   in Loop: Header=BB5_5 Depth=1
	v_div_scale_f32 v4, s[8:9], v14, v14, v15
	v_rcp_f32_e32 v13, v4
	v_div_scale_f32 v16, vcc, v15, v14, v15
	v_fma_f32 v17, -v4, v13, 1.0
	v_fmac_f32_e32 v13, v17, v13
	v_mul_f32_e32 v17, v16, v13
	v_fma_f32 v18, -v4, v17, v16
	v_fmac_f32_e32 v17, v18, v13
	v_fma_f32 v4, -v4, v17, v16
	v_div_fmas_f32 v4, v4, v13, v17
	v_div_fixup_f32 v13, v4, v14, v15
	v_fma_f32 v4, v15, v13, v14
	v_div_scale_f32 v16, s[8:9], v4, v4, 1.0
	v_rcp_f32_e32 v17, v16
	s_nop 0
	v_fma_f32 v18, -v16, v17, 1.0
	v_fmac_f32_e32 v17, v18, v17
	v_div_scale_f32 v18, vcc, 1.0, v4, 1.0
	v_mul_f32_e32 v19, v18, v17
	v_fma_f32 v20, -v16, v19, v18
	v_fmac_f32_e32 v19, v20, v17
	v_fma_f32 v16, -v16, v19, v18
	v_div_fmas_f32 v16, v16, v17, v19
	v_mul_f32_e32 v17, 0, v13
	v_div_fixup_f32 v4, v16, v4, 1.0
	v_sub_f32_e32 v16, 0, v13
	v_add_f32_e32 v17, 1.0, v17
	v_pk_mul_f32 v[16:17], v[16:17], v[4:5] op_sel_hi:[1,0]
.LBB5_214:                              ;   in Loop: Header=BB5_5 Depth=1
	s_and_saveexec_b64 s[8:9], s[10:11]
	s_cbranch_execnz .LBB5_216
; %bb.215:                              ;   in Loop: Header=BB5_5 Depth=1
	s_or_b64 exec, exec, s[8:9]
	s_and_saveexec_b64 s[8:9], s[6:7]
	s_cbranch_execnz .LBB5_217
	s_branch .LBB5_219
.LBB5_216:                              ;   in Loop: Header=BB5_5 Depth=1
	s_mul_i32 s12, s14, s69
	s_ashr_i32 s13, s12, 31
	s_lshl_b64 s[12:13], s[12:13], 3
	s_add_u32 s12, s28, s12
	s_addc_u32 s13, s29, s13
	global_store_dwordx2 v5, v[14:15], s[12:13]
	s_or_b64 exec, exec, s[8:9]
	s_and_saveexec_b64 s[8:9], s[6:7]
	s_cbranch_execz .LBB5_219
.LBB5_217:                              ;   in Loop: Header=BB5_5 Depth=1
	s_mul_i32 s6, s14, s25
	v_add_u32_e32 v18, s6, v0
	v_add_u32_e32 v20, s56, v0
	v_ashrrev_i32_e32 v19, 31, v18
	v_ashrrev_i32_e32 v21, 31, v20
	v_mov_b32_e32 v14, v16
	v_mov_b32_e32 v15, v16
	;; [unrolled: 1-line block ×3, first 2 shown]
	v_lshl_add_u64 v[18:19], v[18:19], 3, s[42:43]
	v_lshl_add_u64 v[20:21], v[20:21], 3, s[16:17]
	s_mov_b64 s[6:7], 0
	v_mov_b32_e32 v4, v0
.LBB5_218:                              ;   Parent Loop BB5_5 Depth=1
                                        ; =>  This Inner Loop Header: Depth=2
	global_load_dwordx2 v[22:23], v[20:21], off
	v_add_u32_e32 v4, 0x100, v4
	v_cmp_le_i32_e32 vcc, s14, v4
	v_lshl_add_u64 v[20:21], v[20:21], 0, s[50:51]
	s_or_b64 s[6:7], vcc, s[6:7]
	s_waitcnt vmcnt(0)
	v_pk_mul_f32 v[24:25], v[14:15], v[22:23] op_sel:[0,1] op_sel_hi:[1,0]
	s_nop 0
	v_pk_fma_f32 v[26:27], v[16:17], v[22:23], v[24:25] neg_lo:[0,0,1] neg_hi:[0,0,1]
	v_pk_fma_f32 v[22:23], v[16:17], v[22:23], v[24:25]
	s_nop 0
	v_mov_b32_e32 v27, v23
	global_store_dwordx2 v[18:19], v[26:27], off
	v_lshl_add_u64 v[18:19], v[18:19], 0, s[50:51]
	s_andn2_b64 exec, exec, s[6:7]
	s_cbranch_execnz .LBB5_218
.LBB5_219:                              ;   in Loop: Header=BB5_5 Depth=1
	s_or_b64 exec, exec, s[8:9]
	s_barrier
	s_mov_b64 s[8:9], -1
	s_mov_b32 s12, -1
.LBB5_220:                              ;   in Loop: Header=BB5_5 Depth=1
	s_and_b64 vcc, exec, s[0:1]
	s_cbranch_vccz .LBB5_224
; %bb.221:                              ;   in Loop: Header=BB5_5 Depth=1
	ds_read_b32 v4, v5 offset:2052
	s_waitcnt lgkmcnt(0)
	v_readfirstlane_b32 s0, v4
	s_cmp_eq_u32 s0, 0
	s_cselect_b64 s[0:1], -1, 0
	s_and_b64 s[6:7], s[10:11], s[0:1]
	s_and_saveexec_b64 s[0:1], s[6:7]
; %bb.222:                              ;   in Loop: Header=BB5_5 Depth=1
	s_add_i32 s6, s14, 1
	v_mov_b32_e32 v4, s6
	ds_write_b32 v5, v4 offset:2052
; %bb.223:                              ;   in Loop: Header=BB5_5 Depth=1
	s_or_b64 exec, exec, s[0:1]
	s_mov_b32 s12, -1
	s_mov_b64 s[8:9], -1
	s_mov_b32 s57, s14
.LBB5_224:                              ;   in Loop: Header=BB5_5 Depth=1
	s_and_saveexec_b64 s[0:1], s[10:11]
	s_cbranch_execz .LBB5_229
; %bb.225:                              ;   in Loop: Header=BB5_5 Depth=1
	s_mov_b32 s15, s53
	s_xor_b64 s[58:59], s[8:9], -1
	s_lshl_b64 s[6:7], s[14:15], 2
	s_add_u32 s6, s24, s6
	s_addc_u32 s7, s33, s7
	s_mov_b64 s[8:9], -1
	s_and_b64 vcc, exec, s[58:59]
	s_cbranch_vccz .LBB5_227
; %bb.226:                              ;   in Loop: Header=BB5_5 Depth=1
	s_not_b32 s8, s57
	v_mov_b32_e32 v14, s8
	v_mov_b32_e32 v15, s8
	global_store_dwordx2 v5, v[14:15], s[6:7] offset:-4
	s_mov_b64 s[8:9], 0
.LBB5_227:                              ;   in Loop: Header=BB5_5 Depth=1
	s_andn2_b64 vcc, exec, s[8:9]
	s_cbranch_vccnz .LBB5_229
; %bb.228:                              ;   in Loop: Header=BB5_5 Depth=1
	s_add_i32 s8, s57, 1
	v_mov_b32_e32 v4, s8
	global_store_dword v5, v4, s[6:7]
.LBB5_229:                              ;   in Loop: Header=BB5_5 Depth=1
	s_or_b64 exec, exec, s[0:1]
	s_add_i32 s14, s12, s14
	s_add_i32 s74, s14, s67
	s_cmp_lt_i32 s14, 0
	s_cselect_b64 s[0:1], -1, 0
	s_and_b64 vcc, exec, s[0:1]
	s_cbranch_vccz .LBB5_5
.LBB5_230:
	s_add_i32 s4, s74, 1
.LBB5_231:
	s_and_saveexec_b64 s[0:1], s[10:11]
	s_cbranch_execz .LBB5_233
; %bb.232:
	s_lshl_b64 s[2:3], s[40:41], 2
	s_add_u32 s6, s20, s2
	s_addc_u32 s7, s21, s3
	v_mov_b32_e32 v3, 0
	s_add_u32 s2, s18, s2
	ds_read_b32 v4, v3 offset:2052
	s_addc_u32 s3, s19, s3
	s_not_b32 s5, s14
	s_add_i32 s5, s26, s5
	v_mov_b32_e32 v5, s5
	global_store_dword v3, v5, s[6:7]
	s_waitcnt lgkmcnt(0)
	global_store_dword v3, v4, s[2:3]
.LBB5_233:
	s_or_b64 exec, exec, s[0:1]
	s_abs_i32 s0, s27
	v_cvt_f32_u32_e32 v3, s0
	s_sub_i32 s3, 0, s0
	s_abs_i32 s2, s14
	s_ashr_i32 s1, s14, 31
	v_rcp_iflag_f32_e32 v3, v3
	s_nop 0
	v_mul_f32_e32 v3, 0x4f7ffffe, v3
	v_cvt_u32_f32_e32 v3, v3
	s_nop 0
	v_readfirstlane_b32 s5, v3
	s_mul_i32 s3, s3, s5
	s_mul_hi_u32 s3, s5, s3
	s_add_i32 s5, s5, s3
	s_mul_hi_u32 s3, s2, s5
	s_mul_i32 s3, s3, s0
	s_sub_i32 s2, s2, s3
	s_sub_i32 s3, s2, s0
	s_cmp_ge_u32 s2, s0
	s_cselect_b32 s2, s3, s2
	s_sub_i32 s3, s2, s0
	s_cmp_ge_u32 s2, s0
	s_cselect_b32 s0, s3, s2
	s_xor_b32 s0, s0, s1
	s_sub_i32 s0, s1, s0
	s_add_i32 s2, s14, s0
	s_add_i32 s0, s14, 1
	s_cmp_lt_i32 s2, 0
	s_mov_b32 s3, 0
	s_cbranch_scc1 .LBB5_253
; %bb.234:
	s_not_b32 s1, s14
	s_mul_i32 s6, s0, s25
	s_mul_i32 s8, s4, s26
	s_add_i32 s1, s26, s1
	s_ashr_i32 s7, s6, 31
	s_ashr_i32 s9, s8, 31
	s_cmp_gt_i32 s1, 0
	s_cselect_b64 s[4:5], -1, 0
	s_lshl_b64 s[10:11], s[6:7], 3
	s_add_u32 s6, s28, s10
	s_addc_u32 s7, s29, s11
	s_lshl_b64 s[12:13], s[38:39], 3
	s_lshl_b64 s[8:9], s[8:9], 3
	s_add_u32 s8, s12, s8
	s_addc_u32 s9, s13, s9
	s_add_u32 s8, s30, s8
	s_addc_u32 s9, s31, s9
	;; [unrolled: 2-line block ×3, first 2 shown]
	s_ashr_i32 s9, s26, 31
	s_mov_b32 s8, s26
	s_lshl_b64 s[8:9], s[8:9], 3
	s_add_u32 s12, s34, s36
	s_addc_u32 s13, s35, s37
	s_add_u32 s10, s12, s10
	s_addc_u32 s11, s13, s11
	s_add_u32 s10, s22, s10
	v_mov_b32_e32 v3, 0
	s_addc_u32 s11, s23, s11
	v_lshl_add_u64 v[4:5], s[10:11], 0, v[2:3]
	s_ashr_i32 s11, s25, 31
	s_mov_b32 s10, s25
	s_lshl_b64 s[10:11], s[10:11], 3
	s_mov_b64 s[12:13], 0x800
	s_branch .LBB5_236
.LBB5_235:                              ;   in Loop: Header=BB5_236 Depth=1
	s_or_b64 exec, exec, s[16:17]
	s_sub_i32 s2, s2, s27
	s_cmp_gt_i32 s2, -1
	s_cbranch_scc0 .LBB5_253
.LBB5_236:                              ; =>This Loop Header: Depth=1
                                        ;     Child Loop BB5_239 Depth 2
                                        ;       Child Loop BB5_243 Depth 3
                                        ;         Child Loop BB5_245 Depth 4
                                        ;     Child Loop BB5_250 Depth 2
                                        ;       Child Loop BB5_252 Depth 3
	s_lshl_b64 s[16:17], s[2:3], 3
	s_add_u32 s14, s38, s16
	s_addc_u32 s15, s39, s17
	s_sub_i32 s18, s0, s2
	s_min_i32 s34, s18, s27
	s_cmp_lt_i32 s34, 1
	s_cbranch_scc1 .LBB5_246
; %bb.237:                              ;   in Loop: Header=BB5_236 Depth=1
	s_add_i32 s35, s34, s2
	s_add_u32 s36, s28, s16
	v_lshl_add_u64 v[6:7], v[4:5], 0, s[16:17]
	s_addc_u32 s37, s29, s17
	s_mov_b64 s[16:17], s[14:15]
	s_mov_b32 s40, s2
	s_branch .LBB5_239
.LBB5_238:                              ;   in Loop: Header=BB5_239 Depth=2
	s_or_b64 exec, exec, s[18:19]
	s_add_i32 s40, s40, 1
	s_add_u32 s16, s16, 8
	s_addc_u32 s17, s17, 0
	s_cmp_lt_i32 s40, s35
	s_cbranch_scc0 .LBB5_246
.LBB5_239:                              ;   Parent Loop BB5_236 Depth=1
                                        ; =>  This Loop Header: Depth=2
                                        ;       Child Loop BB5_243 Depth 3
                                        ;         Child Loop BB5_245 Depth 4
	s_sub_i32 s41, s40, s2
	v_cmp_ge_i32_e32 vcc, s41, v0
	s_and_saveexec_b64 s[18:19], vcc
	s_cbranch_execz .LBB5_238
; %bb.240:                              ;   in Loop: Header=BB5_239 Depth=2
	s_mul_i32 s20, s40, s25
	s_ashr_i32 s21, s20, 31
	s_lshl_b64 s[20:21], s[20:21], 3
	s_add_u32 s20, s36, s20
	s_addc_u32 s21, s37, s21
	s_mov_b64 s[22:23], 0
	v_mov_b64_e32 v[8:9], v[6:7]
	v_mov_b32_e32 v2, v0
	s_branch .LBB5_243
.LBB5_241:                              ;   in Loop: Header=BB5_243 Depth=3
	v_mov_b32_e32 v10, 0
.LBB5_242:                              ;   in Loop: Header=BB5_243 Depth=3
	v_lshl_add_u64 v[12:13], v[2:3], 3, s[20:21]
	global_load_dwordx2 v[14:15], v[12:13], off
	v_xor_b32_e32 v16, 0x80000000, v10
	v_mul_f32_e32 v19, 0, v10
	v_add_u32_e32 v2, 0x100, v2
	v_cmp_lt_i32_e32 vcc, s41, v2
	s_or_b64 s[22:23], vcc, s[22:23]
	v_lshl_add_u64 v[8:9], v[8:9], 0, s[12:13]
	s_waitcnt vmcnt(0)
	v_mul_f32_e32 v10, 0, v15
	v_mov_b32_e32 v18, v14
	v_mov_b32_e32 v17, v15
	v_pk_add_f32 v[18:19], v[18:19], v[10:11] neg_lo:[0,1] neg_hi:[0,1]
	v_pk_mov_b32 v[10:11], v[10:11], v[14:15] op_sel:[1,0]
	s_nop 0
	v_pk_fma_f32 v[16:17], v[10:11], 0, v[16:17] op_sel_hi:[1,0,1] neg_lo:[1,0,0] neg_hi:[1,0,0]
	v_pk_fma_f32 v[10:11], v[10:11], 0, v[14:15] op_sel_hi:[1,0,1]
	s_nop 0
	v_mov_b32_e32 v17, v11
	v_pk_add_f32 v[10:11], v[16:17], v[18:19]
	global_store_dwordx2 v[12:13], v[10:11], off
	s_andn2_b64 exec, exec, s[22:23]
	s_cbranch_execz .LBB5_238
.LBB5_243:                              ;   Parent Loop BB5_236 Depth=1
                                        ;     Parent Loop BB5_239 Depth=2
                                        ; =>    This Loop Header: Depth=3
                                        ;         Child Loop BB5_245 Depth 4
	v_mov_b32_e32 v11, 0
	s_andn2_b64 vcc, exec, s[4:5]
	s_cbranch_vccnz .LBB5_241
; %bb.244:                              ;   in Loop: Header=BB5_243 Depth=3
	v_mov_b64_e32 v[12:13], v[8:9]
	s_mov_b64 s[30:31], s[16:17]
	s_mov_b32 s42, s1
	v_mov_b32_e32 v10, 0
.LBB5_245:                              ;   Parent Loop BB5_236 Depth=1
                                        ;     Parent Loop BB5_239 Depth=2
                                        ;       Parent Loop BB5_243 Depth=3
                                        ; =>      This Inner Loop Header: Depth=4
	global_load_dwordx2 v[14:15], v[12:13], off
	global_load_dwordx2 v[16:17], v3, s[30:31] offset:-4
	s_add_i32 s42, s42, -1
	s_add_u32 s30, s30, s8
	s_addc_u32 s31, s31, s9
	v_lshl_add_u64 v[12:13], v[12:13], 0, s[10:11]
	s_cmp_eq_u32 s42, 0
	s_waitcnt vmcnt(0)
	v_mul_f32_e32 v18, v17, v15
	v_mul_f32_e32 v15, v16, v15
	v_fma_f32 v16, v16, v14, -v18
	v_fmac_f32_e32 v15, v17, v14
	v_add_f32_e32 v10, v10, v16
	v_add_f32_e32 v11, v11, v15
	s_cbranch_scc0 .LBB5_245
	s_branch .LBB5_242
.LBB5_246:                              ;   in Loop: Header=BB5_236 Depth=1
	s_mul_i32 s22, s34, s2
	v_cmp_gt_i32_e32 vcc, s22, v0
	s_and_saveexec_b64 s[16:17], vcc
	s_cbranch_execz .LBB5_235
; %bb.247:                              ;   in Loop: Header=BB5_236 Depth=1
	v_cvt_f32_u32_e32 v2, s2
	s_mul_i32 s20, s2, s25
	s_ashr_i32 s21, s20, 31
	s_lshl_b64 s[20:21], s[20:21], 3
	v_rcp_iflag_f32_e32 v2, v2
	s_add_u32 s20, s28, s20
	s_addc_u32 s21, s29, s21
	s_sub_i32 s23, 0, s2
	v_mul_f32_e32 v2, 0x4f7ffffe, v2
	v_cvt_u32_f32_e32 v2, v2
	s_mov_b64 s[18:19], 0
	v_mov_b32_e32 v13, v0
	v_mul_lo_u32 v6, s23, v2
	v_mul_hi_u32 v6, v2, v6
	v_add_u32_e32 v12, v2, v6
	s_branch .LBB5_250
.LBB5_248:                              ;   in Loop: Header=BB5_250 Depth=2
	v_mov_b32_e32 v7, 0
	v_mov_b32_e32 v14, 0
.LBB5_249:                              ;   in Loop: Header=BB5_250 Depth=2
	v_mad_u64_u32 v[8:9], s[30:31], v6, s25, v[2:3]
	v_ashrrev_i32_e32 v9, 31, v8
	v_lshl_add_u64 v[8:9], v[8:9], 3, s[20:21]
	global_load_dwordx2 v[10:11], v[8:9], off
	v_xor_b32_e32 v16, 0x80000000, v14
	v_mul_f32_e32 v15, 0, v14
	v_add_u32_e32 v13, 0x100, v13
	v_cmp_le_i32_e32 vcc, s22, v13
	s_or_b64 s[18:19], vcc, s[18:19]
	s_waitcnt vmcnt(0)
	v_mul_f32_e32 v6, 0, v11
	v_mov_b32_e32 v14, v10
	v_mov_b32_e32 v17, v11
	v_pk_add_f32 v[14:15], v[14:15], v[6:7] neg_lo:[0,1] neg_hi:[0,1]
	v_pk_mov_b32 v[6:7], v[6:7], v[10:11] op_sel:[1,0]
	s_nop 0
	v_pk_fma_f32 v[16:17], v[6:7], 0, v[16:17] op_sel_hi:[1,0,1] neg_lo:[1,0,0] neg_hi:[1,0,0]
	v_pk_fma_f32 v[6:7], v[6:7], 0, v[10:11] op_sel_hi:[1,0,1]
	s_nop 0
	v_mov_b32_e32 v17, v7
	v_pk_add_f32 v[6:7], v[16:17], v[14:15]
	global_store_dwordx2 v[8:9], v[6:7], off
	s_andn2_b64 exec, exec, s[18:19]
	s_cbranch_execz .LBB5_235
.LBB5_250:                              ;   Parent Loop BB5_236 Depth=1
                                        ; =>  This Loop Header: Depth=2
                                        ;       Child Loop BB5_252 Depth 3
	v_mul_hi_u32 v2, v13, v12
	v_mul_lo_u32 v6, v2, s2
	v_sub_u32_e32 v6, v13, v6
	v_add_u32_e32 v7, 1, v2
	v_cmp_le_u32_e32 vcc, s2, v6
	s_nop 1
	v_cndmask_b32_e32 v2, v2, v7, vcc
	v_subrev_u32_e32 v7, s2, v6
	v_cndmask_b32_e32 v6, v6, v7, vcc
	v_add_u32_e32 v7, 1, v2
	v_cmp_le_u32_e32 vcc, s2, v6
	s_nop 1
	v_cndmask_b32_e32 v6, v2, v7, vcc
	v_mul_lo_u32 v2, v6, s2
	s_andn2_b64 vcc, exec, s[4:5]
	v_sub_u32_e32 v2, v13, v2
	s_cbranch_vccnz .LBB5_248
; %bb.251:                              ;   in Loop: Header=BB5_250 Depth=2
	v_ashrrev_i32_e32 v7, 31, v6
	v_lshl_add_u64 v[8:9], v[6:7], 3, s[14:15]
	v_mov_b32_e32 v7, 0
	v_mov_b32_e32 v10, v2
	s_mov_b32 s23, s1
	v_mov_b32_e32 v14, 0
.LBB5_252:                              ;   Parent Loop BB5_236 Depth=1
                                        ;     Parent Loop BB5_250 Depth=2
                                        ; =>    This Inner Loop Header: Depth=3
	v_ashrrev_i32_e32 v11, 31, v10
	v_lshl_add_u64 v[18:19], v[10:11], 3, s[6:7]
	global_load_dwordx2 v[16:17], v[8:9], off offset:-4
	s_add_i32 s23, s23, -1
	global_load_dwordx2 v[18:19], v[18:19], off
	v_lshl_add_u64 v[8:9], v[8:9], 0, s[8:9]
	v_add_u32_e32 v10, s25, v10
	s_cmp_eq_u32 s23, 0
	s_waitcnt vmcnt(0)
	v_mul_f32_e32 v11, v17, v19
	v_mul_f32_e32 v15, v16, v19
	v_fma_f32 v11, v16, v18, -v11
	v_fmac_f32_e32 v15, v17, v18
	v_add_f32_e32 v14, v14, v11
	v_add_f32_e32 v7, v7, v15
	s_cbranch_scc0 .LBB5_252
	s_branch .LBB5_249
.LBB5_253:
	s_cmp_ge_i32 s0, s66
	s_waitcnt lgkmcnt(0)
	s_barrier
	s_cbranch_scc1 .LBB5_261
; %bb.254:
	s_lshl_b32 s6, s25, 8
	v_mov_b32_e32 v2, 0
	s_branch .LBB5_257
.LBB5_255:                              ;   in Loop: Header=BB5_257 Depth=1
	s_or_b64 exec, exec, s[2:3]
	s_barrier
.LBB5_256:                              ;   in Loop: Header=BB5_257 Depth=1
	s_cmp_lt_i32 s1, s66
	s_mov_b32 s0, s1
	s_cbranch_scc0 .LBB5_261
.LBB5_257:                              ; =>This Loop Header: Depth=1
                                        ;     Child Loop BB5_260 Depth 2
	s_ashr_i32 s1, s0, 31
	s_lshl_b64 s[2:3], s[0:1], 2
	s_add_u32 s2, s24, s2
	s_addc_u32 s3, s33, s3
	global_load_dword v3, v2, s[2:3]
	s_waitcnt vmcnt(0)
	v_readfirstlane_b32 s1, v3
	s_not_b32 s2, s1
	s_add_i32 s3, s1, -1
	s_cmp_lt_i32 s1, 0
	s_cselect_b32 s7, s2, s3
	s_lshr_b32 s1, s1, 31
	s_add_i32 s4, s0, s1
	s_add_i32 s1, s4, 1
	s_cmp_eq_u32 s7, s0
	s_cselect_b64 s[2:3], -1, 0
	s_cmp_le_i32 s26, s1
	s_cselect_b64 s[8:9], -1, 0
	s_or_b64 s[2:3], s[2:3], s[8:9]
	s_and_b64 vcc, exec, s[2:3]
	s_cbranch_vccnz .LBB5_256
; %bb.258:                              ;   in Loop: Header=BB5_257 Depth=1
	s_sub_i32 s8, s26, s1
	v_cmp_gt_i32_e32 vcc, s8, v0
	s_and_saveexec_b64 s[2:3], vcc
	s_cbranch_execz .LBB5_255
; %bb.259:                              ;   in Loop: Header=BB5_257 Depth=1
	v_add_u32_e32 v3, s4, v1
	v_mul_lo_u32 v3, s25, v3
	s_mov_b64 s[4:5], 0
	v_mov_b32_e32 v4, v0
.LBB5_260:                              ;   Parent Loop BB5_257 Depth=1
                                        ; =>  This Inner Loop Header: Depth=2
	v_add_u32_e32 v8, s0, v3
	v_add_u32_e32 v6, s7, v3
	v_ashrrev_i32_e32 v9, 31, v8
	v_ashrrev_i32_e32 v7, 31, v6
	v_lshl_add_u64 v[8:9], v[8:9], 3, s[28:29]
	v_lshl_add_u64 v[6:7], v[6:7], 3, s[28:29]
	global_load_dwordx2 v[10:11], v[8:9], off
	global_load_dwordx2 v[12:13], v[6:7], off
	v_add_u32_e32 v4, 0x100, v4
	v_cmp_le_i32_e32 vcc, s8, v4
	v_add_u32_e32 v3, s6, v3
	s_or_b64 s[4:5], vcc, s[4:5]
	s_waitcnt vmcnt(1)
	global_store_dwordx2 v[6:7], v[10:11], off
	s_waitcnt vmcnt(1)
	global_store_dwordx2 v[8:9], v[12:13], off
	s_andn2_b64 exec, exec, s[4:5]
	s_cbranch_execnz .LBB5_260
	s_branch .LBB5_255
.LBB5_261:
	s_endpgm
	.section	.rodata,"a",@progbits
	.p2align	6, 0x0
	.amdhsa_kernel _ZN9rocsolver6v33100L18lasyf_kernel_upperI19rocblas_complex_numIfEPS3_EEviiPiT0_iilS5_lS5_PT_
		.amdhsa_group_segment_fixed_size 2068
		.amdhsa_private_segment_fixed_size 0
		.amdhsa_kernarg_size 72
		.amdhsa_user_sgpr_count 2
		.amdhsa_user_sgpr_dispatch_ptr 0
		.amdhsa_user_sgpr_queue_ptr 0
		.amdhsa_user_sgpr_kernarg_segment_ptr 1
		.amdhsa_user_sgpr_dispatch_id 0
		.amdhsa_user_sgpr_kernarg_preload_length 0
		.amdhsa_user_sgpr_kernarg_preload_offset 0
		.amdhsa_user_sgpr_private_segment_size 0
		.amdhsa_uses_dynamic_stack 0
		.amdhsa_enable_private_segment 0
		.amdhsa_system_sgpr_workgroup_id_x 1
		.amdhsa_system_sgpr_workgroup_id_y 1
		.amdhsa_system_sgpr_workgroup_id_z 0
		.amdhsa_system_sgpr_workgroup_info 0
		.amdhsa_system_vgpr_workitem_id 0
		.amdhsa_next_free_vgpr 44
		.amdhsa_next_free_sgpr 76
		.amdhsa_accum_offset 44
		.amdhsa_reserve_vcc 1
		.amdhsa_float_round_mode_32 0
		.amdhsa_float_round_mode_16_64 0
		.amdhsa_float_denorm_mode_32 3
		.amdhsa_float_denorm_mode_16_64 3
		.amdhsa_dx10_clamp 1
		.amdhsa_ieee_mode 1
		.amdhsa_fp16_overflow 0
		.amdhsa_tg_split 0
		.amdhsa_exception_fp_ieee_invalid_op 0
		.amdhsa_exception_fp_denorm_src 0
		.amdhsa_exception_fp_ieee_div_zero 0
		.amdhsa_exception_fp_ieee_overflow 0
		.amdhsa_exception_fp_ieee_underflow 0
		.amdhsa_exception_fp_ieee_inexact 0
		.amdhsa_exception_int_div_zero 0
	.end_amdhsa_kernel
	.section	.text._ZN9rocsolver6v33100L18lasyf_kernel_upperI19rocblas_complex_numIfEPS3_EEviiPiT0_iilS5_lS5_PT_,"axG",@progbits,_ZN9rocsolver6v33100L18lasyf_kernel_upperI19rocblas_complex_numIfEPS3_EEviiPiT0_iilS5_lS5_PT_,comdat
.Lfunc_end5:
	.size	_ZN9rocsolver6v33100L18lasyf_kernel_upperI19rocblas_complex_numIfEPS3_EEviiPiT0_iilS5_lS5_PT_, .Lfunc_end5-_ZN9rocsolver6v33100L18lasyf_kernel_upperI19rocblas_complex_numIfEPS3_EEviiPiT0_iilS5_lS5_PT_
                                        ; -- End function
	.set _ZN9rocsolver6v33100L18lasyf_kernel_upperI19rocblas_complex_numIfEPS3_EEviiPiT0_iilS5_lS5_PT_.num_vgpr, 44
	.set _ZN9rocsolver6v33100L18lasyf_kernel_upperI19rocblas_complex_numIfEPS3_EEviiPiT0_iilS5_lS5_PT_.num_agpr, 0
	.set _ZN9rocsolver6v33100L18lasyf_kernel_upperI19rocblas_complex_numIfEPS3_EEviiPiT0_iilS5_lS5_PT_.numbered_sgpr, 76
	.set _ZN9rocsolver6v33100L18lasyf_kernel_upperI19rocblas_complex_numIfEPS3_EEviiPiT0_iilS5_lS5_PT_.num_named_barrier, 0
	.set _ZN9rocsolver6v33100L18lasyf_kernel_upperI19rocblas_complex_numIfEPS3_EEviiPiT0_iilS5_lS5_PT_.private_seg_size, 0
	.set _ZN9rocsolver6v33100L18lasyf_kernel_upperI19rocblas_complex_numIfEPS3_EEviiPiT0_iilS5_lS5_PT_.uses_vcc, 1
	.set _ZN9rocsolver6v33100L18lasyf_kernel_upperI19rocblas_complex_numIfEPS3_EEviiPiT0_iilS5_lS5_PT_.uses_flat_scratch, 0
	.set _ZN9rocsolver6v33100L18lasyf_kernel_upperI19rocblas_complex_numIfEPS3_EEviiPiT0_iilS5_lS5_PT_.has_dyn_sized_stack, 0
	.set _ZN9rocsolver6v33100L18lasyf_kernel_upperI19rocblas_complex_numIfEPS3_EEviiPiT0_iilS5_lS5_PT_.has_recursion, 0
	.set _ZN9rocsolver6v33100L18lasyf_kernel_upperI19rocblas_complex_numIfEPS3_EEviiPiT0_iilS5_lS5_PT_.has_indirect_call, 0
	.section	.AMDGPU.csdata,"",@progbits
; Kernel info:
; codeLenInByte = 10904
; TotalNumSgprs: 82
; NumVgprs: 44
; NumAgprs: 0
; TotalNumVgprs: 44
; ScratchSize: 0
; MemoryBound: 0
; FloatMode: 240
; IeeeMode: 1
; LDSByteSize: 2068 bytes/workgroup (compile time only)
; SGPRBlocks: 10
; VGPRBlocks: 5
; NumSGPRsForWavesPerEU: 82
; NumVGPRsForWavesPerEU: 44
; AccumOffset: 44
; Occupancy: 8
; WaveLimiterHint : 1
; COMPUTE_PGM_RSRC2:SCRATCH_EN: 0
; COMPUTE_PGM_RSRC2:USER_SGPR: 2
; COMPUTE_PGM_RSRC2:TRAP_HANDLER: 0
; COMPUTE_PGM_RSRC2:TGID_X_EN: 1
; COMPUTE_PGM_RSRC2:TGID_Y_EN: 1
; COMPUTE_PGM_RSRC2:TGID_Z_EN: 0
; COMPUTE_PGM_RSRC2:TIDIG_COMP_CNT: 0
; COMPUTE_PGM_RSRC3_GFX90A:ACCUM_OFFSET: 10
; COMPUTE_PGM_RSRC3_GFX90A:TG_SPLIT: 0
	.section	.text._ZN9rocsolver6v33100L18lasyf_kernel_lowerI19rocblas_complex_numIfEPS3_EEviiPiT0_iilS5_lS5_PT_,"axG",@progbits,_ZN9rocsolver6v33100L18lasyf_kernel_lowerI19rocblas_complex_numIfEPS3_EEviiPiT0_iilS5_lS5_PT_,comdat
	.globl	_ZN9rocsolver6v33100L18lasyf_kernel_lowerI19rocblas_complex_numIfEPS3_EEviiPiT0_iilS5_lS5_PT_ ; -- Begin function _ZN9rocsolver6v33100L18lasyf_kernel_lowerI19rocblas_complex_numIfEPS3_EEviiPiT0_iilS5_lS5_PT_
	.p2align	8
	.type	_ZN9rocsolver6v33100L18lasyf_kernel_lowerI19rocblas_complex_numIfEPS3_EEviiPiT0_iilS5_lS5_PT_,@function
_ZN9rocsolver6v33100L18lasyf_kernel_lowerI19rocblas_complex_numIfEPS3_EEviiPiT0_iilS5_lS5_PT_: ; @_ZN9rocsolver6v33100L18lasyf_kernel_lowerI19rocblas_complex_numIfEPS3_EEviiPiT0_iilS5_lS5_PT_
; %bb.0:
	s_mov_b32 s40, s3
	v_cmp_eq_u32_e64 s[10:11], 0, v0
	s_and_saveexec_b64 s[2:3], s[10:11]
; %bb.1:
	v_mov_b32_e32 v1, 0
	ds_write_b32 v1, v1 offset:2052
; %bb.2:
	s_or_b64 exec, exec, s[2:3]
	s_load_dwordx2 s[26:27], s[0:1], 0x18
	s_load_dwordx2 s[28:29], s[0:1], 0x0
	s_load_dwordx4 s[20:23], s[0:1], 0x8
	s_load_dwordx8 s[12:19], s[0:1], 0x20
	s_load_dwordx2 s[34:35], s[0:1], 0x40
	s_ashr_i32 s41, s40, 31
	s_waitcnt lgkmcnt(0)
	s_ashr_i32 s1, s26, 31
	s_mov_b32 s0, s26
	s_mul_hi_u32 s2, s12, s40
	s_mul_i32 s3, s12, s41
	s_add_i32 s2, s2, s3
	s_mul_i32 s3, s13, s40
	s_add_i32 s3, s2, s3
	s_mul_i32 s2, s12, s40
	s_lshl_b64 s[36:37], s[2:3], 3
	s_add_u32 s2, s22, s36
	s_addc_u32 s3, s23, s37
	s_lshl_b64 s[38:39], s[0:1], 3
	s_mul_i32 s0, s28, s40
	s_add_u32 s24, s2, s38
	s_mul_i32 s0, s0, s29
	s_addc_u32 s25, s3, s39
	s_ashr_i32 s1, s0, 31
	s_lshl_b64 s[42:43], s[0:1], 3
	s_add_u32 s30, s34, s42
	s_mul_hi_u32 s0, s16, s40
	s_mul_i32 s1, s16, s41
	s_addc_u32 s31, s35, s43
	s_add_i32 s0, s0, s1
	s_mul_i32 s1, s17, s40
	s_add_i32 s1, s0, s1
	s_mul_i32 s0, s16, s40
	s_lshl_b64 s[0:1], s[0:1], 2
	s_add_u32 s14, s14, s0
	s_addc_u32 s15, s15, s1
	s_cmp_lt_i32 s28, 1
	v_lshlrev_b32_e32 v4, 3, v0
	v_mul_lo_u32 v1, v0, s27
	s_cbranch_scc1 .LBB6_258
; %bb.3:
	s_add_i32 s26, s29, -1
	s_cmp_eq_u32 s29, s28
	s_cselect_b64 s[16:17], -1, 0
	s_add_i32 s33, s28, -1
	s_add_i32 s72, s27, 1
	s_add_i32 s73, s28, -2
	s_add_i32 s74, s28, 1
	s_add_u32 s44, s34, s42
	s_movk_i32 s0, 0x80
	s_addc_u32 s45, s35, s43
	v_cmp_gt_u32_e64 s[2:3], s0, v0
	s_add_u32 s0, s36, s38
	s_addc_u32 s1, s37, s39
	s_add_u32 s46, s22, s0
	s_addc_u32 s47, s23, s1
	;; [unrolled: 2-line block ×3, first 2 shown]
	v_mov_b32_e32 v9, 0
	s_ashr_i32 s1, s27, 31
	s_mov_b32 s0, s27
	v_mov_b32_e32 v5, v9
	s_lshl_b64 s[54:55], s[0:1], 3
	s_lshl_b32 s0, s28, 8
	v_lshlrev_b32_e32 v7, 2, v0
	v_add_u32_e32 v6, 2, v0
	s_mov_b32 s51, 0
	s_mov_b32 s50, s28
	v_lshl_add_u64 v[12:13], s[44:45], 0, v[4:5]
	v_mul_lo_u32 v16, v0, s28
	s_ashr_i32 s1, s0, 31
	v_or_b32_e32 v44, 0x400, v7
	v_cmp_gt_u32_e64 s[4:5], 64, v0
	s_lshl_b64 s[52:53], s[50:51], 3
	v_lshl_add_u64 v[10:11], s[46:47], 0, v[4:5]
	v_lshl_add_u64 v[14:15], v[12:13], 0, 8
	s_lshl_b32 s75, s27, 8
	v_mul_lo_u32 v5, v0, s27
	v_ashrrev_i32_e32 v17, 31, v16
	s_lshl_b64 s[56:57], s[0:1], 3
	v_add_u32_e32 v45, s27, v6
	s_mov_b64 s[58:59], 0
	s_mov_b64 s[60:61], 0x800
	s_brev_b32 s76, -2
	v_mov_b32_e32 v18, -1.0
	s_mov_b32 s50, -1.0
	v_mov_b32_e32 v2, v9
                                        ; implicit-def: $sgpr62_sgpr63
	s_branch .LBB6_6
.LBB6_4:                                ;   in Loop: Header=BB6_6 Depth=1
	s_or_b64 exec, exec, s[0:1]
	v_add_u32_e32 v2, v8, v2
	v_cmp_le_i32_e32 vcc, s28, v2
	s_andn2_b64 s[0:1], s[62:63], exec
	s_and_b64 s[6:7], vcc, exec
	s_or_b64 s[62:63], s[0:1], s[6:7]
.LBB6_5:                                ;   in Loop: Header=BB6_6 Depth=1
	s_or_b64 exec, exec, s[64:65]
	s_and_b64 s[0:1], exec, s[62:63]
	s_or_b64 s[58:59], s[0:1], s[58:59]
	s_andn2_b64 exec, exec, s[58:59]
	s_cbranch_execz .LBB6_226
.LBB6_6:                                ; =>This Loop Header: Depth=1
                                        ;     Child Loop BB6_11 Depth 2
                                        ;     Child Loop BB6_16 Depth 2
                                        ;       Child Loop BB6_18 Depth 3
                                        ;     Child Loop BB6_22 Depth 2
                                        ;     Child Loop BB6_64 Depth 2
	;; [unrolled: 1-line block ×4, first 2 shown]
                                        ;       Child Loop BB6_76 Depth 3
                                        ;     Child Loop BB6_81 Depth 2
                                        ;     Child Loop BB6_122 Depth 2
	;; [unrolled: 1-line block ×9, first 2 shown]
	v_cmp_gt_i32_e32 vcc, s26, v2
	s_or_b64 s[0:1], s[16:17], vcc
	s_or_b64 s[62:63], s[62:63], exec
	s_and_saveexec_b64 s[64:65], s[0:1]
	s_cbranch_execz .LBB6_5
; %bb.7:                                ;   in Loop: Header=BB6_6 Depth=1
	v_sub_u32_e32 v40, s28, v2
	v_cmp_lt_i32_e64 s[8:9], v0, v40
	v_cmp_ge_i32_e32 vcc, v0, v40
	v_mul_lo_u32 v22, v2, s28
	s_and_saveexec_b64 s[0:1], vcc
	s_xor_b64 s[0:1], exec, s[0:1]
; %bb.8:                                ;   in Loop: Header=BB6_6 Depth=1
	v_mul_lo_u32 v22, v2, s28
; %bb.9:                                ;   in Loop: Header=BB6_6 Depth=1
	s_andn2_saveexec_b64 s[0:1], s[0:1]
	s_cbranch_execz .LBB6_13
; %bb.10:                               ;   in Loop: Header=BB6_6 Depth=1
	v_mad_u64_u32 v[20:21], s[6:7], s74, v2, v[0:1]
	v_mad_u64_u32 v[24:25], s[6:7], s72, v2, v[0:1]
	v_mov_b32_e32 v21, v9
	v_ashrrev_i32_e32 v25, 31, v24
	v_lshl_add_u64 v[20:21], v[20:21], 3, s[44:45]
	v_lshl_add_u64 v[24:25], v[24:25], 3, s[46:47]
	s_mov_b64 s[6:7], 0
	v_mov_b32_e32 v3, v0
.LBB6_11:                               ;   Parent Loop BB6_6 Depth=1
                                        ; =>  This Inner Loop Header: Depth=2
	global_load_dwordx2 v[26:27], v[24:25], off
	v_add_u32_e32 v3, 0x100, v3
	v_cmp_ge_i32_e32 vcc, v3, v40
	v_lshl_add_u64 v[24:25], v[24:25], 0, s[60:61]
	s_or_b64 s[6:7], vcc, s[6:7]
	s_waitcnt vmcnt(0)
	global_store_dwordx2 v[20:21], v[26:27], off
	v_lshl_add_u64 v[20:21], v[20:21], 0, s[60:61]
	s_andn2_b64 exec, exec, s[6:7]
	s_cbranch_execnz .LBB6_11
; %bb.12:                               ;   in Loop: Header=BB6_6 Depth=1
	s_or_b64 exec, exec, s[6:7]
.LBB6_13:                               ;   in Loop: Header=BB6_6 Depth=1
	s_or_b64 exec, exec, s[0:1]
	v_mov_b32_e32 v3, v9
	v_lshl_add_u64 v[24:25], v[2:3], 3, s[30:31]
	v_ashrrev_i32_e32 v23, 31, v22
	v_lshl_add_u64 v[20:21], v[22:23], 3, v[24:25]
	s_barrier
	s_and_saveexec_b64 s[6:7], s[8:9]
	s_cbranch_execz .LBB6_20
; %bb.14:                               ;   in Loop: Header=BB6_6 Depth=1
	v_lshlrev_b64 v[28:29], 3, v[2:3]
	v_cmp_ne_u32_e32 vcc, 0, v2
	v_lshl_add_u64 v[26:27], s[48:49], 0, v[28:29]
	v_lshl_add_u64 v[28:29], v[10:11], 0, v[28:29]
	s_mov_b64 s[12:13], 0
	v_mov_b32_e32 v8, v0
	s_branch .LBB6_16
.LBB6_15:                               ;   in Loop: Header=BB6_16 Depth=2
	s_or_b64 exec, exec, s[66:67]
	v_lshl_add_u64 v[32:33], v[8:9], 3, v[20:21]
	global_load_dwordx2 v[34:35], v[32:33], off
	v_mul_f32_e32 v39, 0, v19
	v_xor_b32_e32 v36, 0x80000000, v19
	v_add_u32_e32 v8, 0x100, v8
	v_cmp_ge_i32_e64 s[0:1], v8, v40
	s_or_b64 s[12:13], s[0:1], s[12:13]
	v_lshl_add_u64 v[28:29], v[28:29], 0, s[60:61]
	s_waitcnt vmcnt(0)
	v_mul_f32_e32 v30, 0, v35
	v_mov_b32_e32 v38, v34
	v_mov_b32_e32 v37, v35
	v_pk_add_f32 v[38:39], v[38:39], v[30:31] neg_lo:[0,1] neg_hi:[0,1]
	v_pk_mov_b32 v[30:31], v[30:31], v[34:35] op_sel:[1,0]
	s_nop 0
	v_pk_fma_f32 v[36:37], v[30:31], 0, v[36:37] op_sel_hi:[1,0,1] neg_lo:[1,0,0] neg_hi:[1,0,0]
	v_pk_fma_f32 v[30:31], v[30:31], 0, v[34:35] op_sel_hi:[1,0,1]
	s_nop 0
	v_mov_b32_e32 v37, v31
	v_pk_add_f32 v[30:31], v[36:37], v[38:39]
	global_store_dwordx2 v[32:33], v[30:31], off
	s_andn2_b64 exec, exec, s[12:13]
	s_cbranch_execz .LBB6_20
.LBB6_16:                               ;   Parent Loop BB6_6 Depth=1
                                        ; =>  This Loop Header: Depth=2
                                        ;       Child Loop BB6_18 Depth 3
	v_mov_b32_e32 v31, 0
	v_mov_b32_e32 v19, 0
	s_and_saveexec_b64 s[66:67], vcc
	s_cbranch_execz .LBB6_15
; %bb.17:                               ;   in Loop: Header=BB6_16 Depth=2
	v_mov_b32_e32 v31, 0
	s_mov_b64 s[68:69], 0
	v_mov_b64_e32 v[32:33], v[28:29]
	v_mov_b64_e32 v[34:35], v[26:27]
	v_mov_b32_e32 v30, v2
	v_mov_b32_e32 v19, 0
.LBB6_18:                               ;   Parent Loop BB6_6 Depth=1
                                        ;     Parent Loop BB6_16 Depth=2
                                        ; =>    This Inner Loop Header: Depth=3
	global_load_dwordx2 v[36:37], v[32:33], off
	global_load_dwordx2 v[38:39], v[34:35], off offset:-4
	v_add_u32_e32 v30, -1, v30
	v_cmp_eq_u32_e64 s[0:1], 0, v30
	v_lshl_add_u64 v[34:35], v[34:35], 0, s[52:53]
	v_lshl_add_u64 v[32:33], v[32:33], 0, s[54:55]
	s_or_b64 s[68:69], s[0:1], s[68:69]
	s_waitcnt vmcnt(0)
	v_mul_f32_e32 v41, v39, v37
	v_mul_f32_e32 v37, v38, v37
	v_fma_f32 v38, v38, v36, -v41
	v_fmac_f32_e32 v37, v39, v36
	v_add_f32_e32 v19, v19, v38
	v_add_f32_e32 v31, v31, v37
	s_andn2_b64 exec, exec, s[68:69]
	s_cbranch_execnz .LBB6_18
; %bb.19:                               ;   in Loop: Header=BB6_16 Depth=2
	s_or_b64 exec, exec, s[68:69]
	s_branch .LBB6_15
.LBB6_20:                               ;   in Loop: Header=BB6_6 Depth=1
	s_or_b64 exec, exec, s[6:7]
	v_add_u32_e32 v19, -1, v40
	v_cmp_lt_i32_e64 s[6:7], v0, v19
	v_bfrev_b32_e32 v8, -2
	v_mov_b32_e32 v28, 0
	s_barrier
	s_and_saveexec_b64 s[66:67], s[6:7]
	s_cbranch_execz .LBB6_24
; %bb.21:                               ;   in Loop: Header=BB6_6 Depth=1
	v_lshlrev_b64 v[26:27], 3, v[2:3]
	v_lshl_add_u64 v[26:27], v[22:23], 3, v[26:27]
	v_lshl_add_u64 v[26:27], v[14:15], 0, v[26:27]
	v_bfrev_b32_e32 v8, -2
	v_mov_b32_e32 v28, 0
	s_mov_b64 s[68:69], 0
	v_mov_b32_e32 v29, v0
.LBB6_22:                               ;   Parent Loop BB6_6 Depth=1
                                        ; =>  This Inner Loop Header: Depth=2
	global_load_dwordx2 v[30:31], v[26:27], off
	v_cmp_eq_u32_e32 vcc, s76, v8
	v_add_u32_e32 v32, 1, v29
	v_add_u32_e32 v29, 0x100, v29
	v_cmp_ge_i32_e64 s[0:1], v29, v19
	v_lshl_add_u64 v[26:27], v[26:27], 0, s[60:61]
	s_waitcnt vmcnt(0)
	v_cmp_gt_f32_e64 s[12:13], 0, v31
	s_nop 1
	v_cndmask_b32_e64 v31, v31, -v31, s[12:13]
	v_cmp_gt_f32_e64 s[12:13], 0, v30
	s_nop 1
	v_cndmask_b32_e64 v30, v30, -v30, s[12:13]
	v_add_f32_e32 v30, v30, v31
	v_cmp_lt_f32_e64 s[12:13], v28, v30
	s_or_b64 vcc, s[12:13], vcc
	v_cndmask_b32_e32 v8, v8, v32, vcc
	s_or_b64 s[68:69], s[0:1], s[68:69]
	v_cndmask_b32_e32 v28, v28, v30, vcc
	s_andn2_b64 exec, exec, s[68:69]
	s_cbranch_execnz .LBB6_22
; %bb.23:                               ;   in Loop: Header=BB6_6 Depth=1
	s_or_b64 exec, exec, s[68:69]
.LBB6_24:                               ;   in Loop: Header=BB6_6 Depth=1
	s_or_b64 exec, exec, s[66:67]
	v_cmp_lt_i32_e32 vcc, 2, v40
	ds_write_b32 v44, v28
	ds_write_b32 v7, v8
	s_waitcnt lgkmcnt(0)
	s_barrier
	s_and_saveexec_b64 s[66:67], vcc
	s_cbranch_execz .LBB6_58
; %bb.25:                               ;   in Loop: Header=BB6_6 Depth=1
	s_and_saveexec_b64 s[12:13], s[2:3]
	s_cbranch_execz .LBB6_31
; %bb.26:                               ;   in Loop: Header=BB6_6 Depth=1
	ds_read_b32 v26, v44 offset:512
	ds_read_b32 v27, v7 offset:512
	s_waitcnt lgkmcnt(1)
	v_cmp_lt_f32_e64 s[68:69], v28, v26
	v_cmp_nlt_f32_e32 vcc, v28, v26
	s_and_saveexec_b64 s[70:71], vcc
	s_cbranch_execz .LBB6_28
; %bb.27:                               ;   in Loop: Header=BB6_6 Depth=1
	v_cmp_eq_f32_e32 vcc, v28, v26
	s_waitcnt lgkmcnt(0)
	v_cmp_gt_i32_e64 s[0:1], v8, v27
	s_and_b64 s[0:1], vcc, s[0:1]
	s_andn2_b64 s[68:69], s[68:69], exec
	s_and_b64 s[0:1], s[0:1], exec
	s_or_b64 s[68:69], s[68:69], s[0:1]
.LBB6_28:                               ;   in Loop: Header=BB6_6 Depth=1
	s_or_b64 exec, exec, s[70:71]
	s_and_saveexec_b64 s[0:1], s[68:69]
	s_cbranch_execz .LBB6_30
; %bb.29:                               ;   in Loop: Header=BB6_6 Depth=1
	v_mov_b32_e32 v28, v26
	s_waitcnt lgkmcnt(0)
	v_mov_b32_e32 v8, v27
	ds_write_b32 v44, v26
	ds_write_b32 v7, v27
.LBB6_30:                               ;   in Loop: Header=BB6_6 Depth=1
	s_or_b64 exec, exec, s[0:1]
.LBB6_31:                               ;   in Loop: Header=BB6_6 Depth=1
	s_or_b64 exec, exec, s[12:13]
	s_waitcnt lgkmcnt(0)
	s_barrier
	s_and_b64 exec, exec, s[4:5]
	s_cbranch_execz .LBB6_58
; %bb.32:                               ;   in Loop: Header=BB6_6 Depth=1
	ds_read_b32 v26, v44 offset:256
	ds_read_b32 v27, v7 offset:256
	s_waitcnt lgkmcnt(1)
	v_cmp_lt_f32_e64 s[12:13], v28, v26
	v_cmp_nlt_f32_e32 vcc, v28, v26
	s_and_saveexec_b64 s[68:69], vcc
	s_cbranch_execz .LBB6_34
; %bb.33:                               ;   in Loop: Header=BB6_6 Depth=1
	v_cmp_eq_f32_e32 vcc, v28, v26
	s_waitcnt lgkmcnt(0)
	v_cmp_gt_i32_e64 s[0:1], v8, v27
	s_and_b64 s[0:1], vcc, s[0:1]
	s_andn2_b64 s[12:13], s[12:13], exec
	s_and_b64 s[0:1], s[0:1], exec
	s_or_b64 s[12:13], s[12:13], s[0:1]
.LBB6_34:                               ;   in Loop: Header=BB6_6 Depth=1
	s_or_b64 exec, exec, s[68:69]
	s_and_saveexec_b64 s[0:1], s[12:13]
	s_cbranch_execz .LBB6_36
; %bb.35:                               ;   in Loop: Header=BB6_6 Depth=1
	s_waitcnt lgkmcnt(0)
	v_mov_b32_e32 v8, v27
	v_mov_b32_e32 v28, v26
	ds_write_b32 v44, v26
	ds_write_b32 v7, v27
.LBB6_36:                               ;   in Loop: Header=BB6_6 Depth=1
	s_or_b64 exec, exec, s[0:1]
	ds_read_b32 v26, v44 offset:128
	s_waitcnt lgkmcnt(1)
	ds_read_b32 v27, v7 offset:128
	s_waitcnt lgkmcnt(1)
	v_cmp_lt_f32_e64 s[12:13], v28, v26
	v_cmp_nlt_f32_e32 vcc, v28, v26
	s_and_saveexec_b64 s[68:69], vcc
	s_cbranch_execz .LBB6_38
; %bb.37:                               ;   in Loop: Header=BB6_6 Depth=1
	v_cmp_eq_f32_e32 vcc, v28, v26
	s_waitcnt lgkmcnt(0)
	v_cmp_gt_i32_e64 s[0:1], v8, v27
	s_and_b64 s[0:1], vcc, s[0:1]
	s_andn2_b64 s[12:13], s[12:13], exec
	s_and_b64 s[0:1], s[0:1], exec
	s_or_b64 s[12:13], s[12:13], s[0:1]
.LBB6_38:                               ;   in Loop: Header=BB6_6 Depth=1
	s_or_b64 exec, exec, s[68:69]
	s_and_saveexec_b64 s[0:1], s[12:13]
	s_cbranch_execz .LBB6_40
; %bb.39:                               ;   in Loop: Header=BB6_6 Depth=1
	s_waitcnt lgkmcnt(0)
	v_mov_b32_e32 v8, v27
	v_mov_b32_e32 v28, v26
	ds_write_b32 v44, v26
	ds_write_b32 v7, v27
.LBB6_40:                               ;   in Loop: Header=BB6_6 Depth=1
	s_or_b64 exec, exec, s[0:1]
	ds_read_b32 v26, v44 offset:64
	s_waitcnt lgkmcnt(1)
	;; [unrolled: 28-line block ×6, first 2 shown]
	ds_read_b32 v27, v7 offset:4
	s_waitcnt lgkmcnt(1)
	v_cmp_eq_f32_e64 s[0:1], v28, v26
	s_waitcnt lgkmcnt(0)
	v_cmp_gt_i32_e64 s[12:13], v8, v27
	v_cmp_lt_f32_e32 vcc, v28, v26
	s_and_b64 s[0:1], s[0:1], s[12:13]
	s_or_b64 s[0:1], vcc, s[0:1]
	s_and_b64 exec, exec, s[0:1]
	s_cbranch_execz .LBB6_58
; %bb.57:                               ;   in Loop: Header=BB6_6 Depth=1
	ds_write_b32 v44, v26
	ds_write_b32 v7, v27
.LBB6_58:                               ;   in Loop: Header=BB6_6 Depth=1
	s_or_b64 exec, exec, s[66:67]
	s_and_saveexec_b64 s[0:1], s[10:11]
	s_cbranch_execz .LBB6_60
; %bb.59:                               ;   in Loop: Header=BB6_6 Depth=1
	global_load_dwordx2 v[26:27], v[20:21], off
	ds_read2st64_b32 v[28:29], v9 offset1:4
	s_waitcnt lgkmcnt(0)
	v_add_u32_e32 v8, v28, v2
	ds_write_b32 v9, v8 offset:2048
	s_waitcnt vmcnt(0)
	v_cmp_gt_f32_e32 vcc, 0, v27
	s_nop 1
	v_cndmask_b32_e64 v8, v27, -v27, vcc
	v_cmp_gt_f32_e32 vcc, 0, v26
	s_nop 1
	v_cndmask_b32_e64 v26, v26, -v26, vcc
	v_add_f32_e32 v28, v26, v8
	ds_write_b64 v9, v[28:29] offset:2056
.LBB6_60:                               ;   in Loop: Header=BB6_6 Depth=1
	s_or_b64 exec, exec, s[0:1]
	s_waitcnt lgkmcnt(0)
	s_barrier
	ds_read_b64 v[26:27], v9 offset:2056
	v_add_u32_e32 v46, 1, v2
	s_waitcnt lgkmcnt(0)
	v_cmp_lt_f32_e32 vcc, v26, v27
	s_nop 1
	v_cndmask_b32_e32 v8, v26, v27, vcc
	v_cmp_neq_f32_e32 vcc, 0, v8
	s_cbranch_vccz .LBB6_78
; %bb.61:                               ;   in Loop: Header=BB6_6 Depth=1
	v_mul_f32_e32 v8, 0x3f23f07b, v27
	v_cmp_ge_f32_e32 vcc, v26, v8
	s_cbranch_vccnz .LBB6_169
; %bb.62:                               ;   in Loop: Header=BB6_6 Depth=1
	ds_read_b32 v8, v9 offset:2048
	s_waitcnt lgkmcnt(0)
	v_sub_u32_e32 v30, v8, v2
	v_cmp_lt_i32_e32 vcc, v0, v30
	s_and_saveexec_b64 s[0:1], vcc
	s_cbranch_execz .LBB6_65
; %bb.63:                               ;   in Loop: Header=BB6_6 Depth=1
	v_add_u32_e32 v28, v0, v2
	v_mad_u64_u32 v[26:27], s[12:13], v46, s28, v[28:29]
	v_mov_b32_e32 v27, v9
	v_mul_lo_u32 v28, s27, v28
	v_lshl_add_u64 v[26:27], v[26:27], 3, s[44:45]
	v_add_u32_e32 v28, v8, v28
	s_mov_b64 s[12:13], 0
	v_mov_b32_e32 v31, v0
.LBB6_64:                               ;   Parent Loop BB6_6 Depth=1
                                        ; =>  This Inner Loop Header: Depth=2
	v_ashrrev_i32_e32 v29, 31, v28
	v_lshl_add_u64 v[32:33], v[28:29], 3, s[24:25]
	global_load_dwordx2 v[32:33], v[32:33], off
	v_add_u32_e32 v31, 0x100, v31
	v_cmp_ge_i32_e32 vcc, v31, v30
	v_add_u32_e32 v28, s75, v28
	s_or_b64 s[12:13], vcc, s[12:13]
	s_waitcnt vmcnt(0)
	global_store_dwordx2 v[26:27], v[32:33], off
	v_lshl_add_u64 v[26:27], v[26:27], 0, s[60:61]
	s_andn2_b64 exec, exec, s[12:13]
	s_cbranch_execnz .LBB6_64
.LBB6_65:                               ;   in Loop: Header=BB6_6 Depth=1
	s_or_b64 exec, exec, s[0:1]
	v_sub_u32_e32 v29, s28, v8
	v_cmp_ge_i32_e32 vcc, v0, v29
                                        ; implicit-def: $vgpr28
	s_and_saveexec_b64 s[0:1], vcc
	s_xor_b64 s[0:1], exec, s[0:1]
; %bb.66:                               ;   in Loop: Header=BB6_6 Depth=1
	v_mul_lo_u32 v28, v46, s28
                                        ; implicit-def: $vgpr29
                                        ; implicit-def: $vgpr8
; %bb.67:                               ;   in Loop: Header=BB6_6 Depth=1
	s_andn2_saveexec_b64 s[0:1], s[0:1]
	s_cbranch_execz .LBB6_71
; %bb.68:                               ;   in Loop: Header=BB6_6 Depth=1
	v_mul_lo_u32 v28, v46, s28
	v_add3_u32 v26, v0, v8, v28
	v_mul_lo_u32 v8, s72, v8
	v_add_u32_e32 v30, v0, v8
	v_ashrrev_i32_e32 v27, 31, v26
	v_ashrrev_i32_e32 v31, 31, v30
	v_lshl_add_u64 v[26:27], v[26:27], 3, s[44:45]
	v_lshl_add_u64 v[30:31], v[30:31], 3, s[46:47]
	s_mov_b64 s[12:13], 0
	v_mov_b32_e32 v8, v0
.LBB6_69:                               ;   Parent Loop BB6_6 Depth=1
                                        ; =>  This Inner Loop Header: Depth=2
	global_load_dwordx2 v[32:33], v[30:31], off
	v_add_u32_e32 v8, 0x100, v8
	v_cmp_ge_i32_e32 vcc, v8, v29
	v_lshl_add_u64 v[30:31], v[30:31], 0, s[60:61]
	s_or_b64 s[12:13], vcc, s[12:13]
	s_waitcnt vmcnt(0)
	global_store_dwordx2 v[26:27], v[32:33], off
	v_lshl_add_u64 v[26:27], v[26:27], 0, s[60:61]
	s_andn2_b64 exec, exec, s[12:13]
	s_cbranch_execnz .LBB6_69
; %bb.70:                               ;   in Loop: Header=BB6_6 Depth=1
	s_or_b64 exec, exec, s[12:13]
.LBB6_71:                               ;   in Loop: Header=BB6_6 Depth=1
	s_or_b64 exec, exec, s[0:1]
	v_ashrrev_i32_e32 v29, 31, v28
	s_barrier
	s_and_saveexec_b64 s[12:13], s[8:9]
	s_cbranch_execz .LBB6_79
; %bb.72:                               ;   in Loop: Header=BB6_6 Depth=1
	ds_read_b32 v32, v9 offset:2048
	v_lshl_add_u64 v[26:27], v[28:29], 3, v[24:25]
	v_cmp_ne_u32_e32 vcc, 0, v2
	v_lshl_add_u64 v[30:31], v[2:3], 3, v[10:11]
	s_mov_b64 s[66:67], 0
	s_waitcnt lgkmcnt(0)
	v_ashrrev_i32_e32 v33, 31, v32
	v_lshlrev_b64 v[32:33], 3, v[32:33]
	v_lshl_add_u64 v[32:33], s[48:49], 0, v[32:33]
	v_mov_b32_e32 v8, v0
	s_branch .LBB6_74
.LBB6_73:                               ;   in Loop: Header=BB6_74 Depth=2
	s_or_b64 exec, exec, s[68:69]
	v_lshl_add_u64 v[36:37], v[8:9], 3, v[26:27]
	global_load_dwordx2 v[38:39], v[36:37], off
	v_xor_b32_e32 v42, 0x80000000, v34
	v_mul_f32_e32 v49, 0, v34
	v_add_u32_e32 v8, 0x100, v8
	v_cmp_ge_i32_e64 s[0:1], v8, v40
	s_or_b64 s[66:67], s[0:1], s[66:67]
	v_lshl_add_u64 v[30:31], v[30:31], 0, s[60:61]
	s_waitcnt vmcnt(0)
	v_mul_f32_e32 v34, 0, v39
	v_mov_b32_e32 v48, v38
	v_mov_b32_e32 v43, v39
	v_pk_add_f32 v[48:49], v[48:49], v[34:35] neg_lo:[0,1] neg_hi:[0,1]
	v_pk_mov_b32 v[34:35], v[34:35], v[38:39] op_sel:[1,0]
	s_nop 0
	v_pk_fma_f32 v[42:43], v[34:35], 0, v[42:43] op_sel_hi:[1,0,1] neg_lo:[1,0,0] neg_hi:[1,0,0]
	v_pk_fma_f32 v[34:35], v[34:35], 0, v[38:39] op_sel_hi:[1,0,1]
	s_nop 0
	v_mov_b32_e32 v43, v35
	v_pk_add_f32 v[34:35], v[42:43], v[48:49]
	global_store_dwordx2 v[36:37], v[34:35], off
	s_andn2_b64 exec, exec, s[66:67]
	s_cbranch_execz .LBB6_79
.LBB6_74:                               ;   Parent Loop BB6_6 Depth=1
                                        ; =>  This Loop Header: Depth=2
                                        ;       Child Loop BB6_76 Depth 3
	v_mov_b32_e32 v35, 0
	v_mov_b32_e32 v34, 0
	s_and_saveexec_b64 s[68:69], vcc
	s_cbranch_execz .LBB6_73
; %bb.75:                               ;   in Loop: Header=BB6_74 Depth=2
	v_mov_b32_e32 v35, 0
	s_mov_b64 s[70:71], 0
	v_mov_b64_e32 v[36:37], v[30:31]
	v_mov_b64_e32 v[38:39], v[32:33]
	v_mov_b32_e32 v41, v2
	v_mov_b32_e32 v34, 0
.LBB6_76:                               ;   Parent Loop BB6_6 Depth=1
                                        ;     Parent Loop BB6_74 Depth=2
                                        ; =>    This Inner Loop Header: Depth=3
	global_load_dwordx2 v[42:43], v[36:37], off
	global_load_dwordx2 v[48:49], v[38:39], off offset:-4
	v_add_u32_e32 v41, -1, v41
	v_cmp_eq_u32_e64 s[0:1], 0, v41
	v_lshl_add_u64 v[38:39], v[38:39], 0, s[52:53]
	v_lshl_add_u64 v[36:37], v[36:37], 0, s[54:55]
	s_or_b64 s[70:71], s[0:1], s[70:71]
	s_waitcnt vmcnt(0)
	v_mul_f32_e32 v47, v49, v43
	v_mul_f32_e32 v43, v48, v43
	v_fma_f32 v47, v48, v42, -v47
	v_fmac_f32_e32 v43, v49, v42
	v_add_f32_e32 v34, v34, v47
	v_add_f32_e32 v35, v35, v43
	s_andn2_b64 exec, exec, s[70:71]
	s_cbranch_execnz .LBB6_76
; %bb.77:                               ;   in Loop: Header=BB6_74 Depth=2
	s_or_b64 exec, exec, s[70:71]
	s_branch .LBB6_73
.LBB6_78:                               ;   in Loop: Header=BB6_6 Depth=1
                                        ; implicit-def: $sgpr12_sgpr13
                                        ; implicit-def: $vgpr26
                                        ; implicit-def: $vgpr8
	s_cbranch_execnz .LBB6_218
	s_branch .LBB6_221
.LBB6_79:                               ;   in Loop: Header=BB6_6 Depth=1
	s_or_b64 exec, exec, s[12:13]
	s_barrier
	ds_read_b32 v26, v9 offset:2048
	v_bfrev_b32_e32 v8, -2
	v_mov_b32_e32 v30, 0
	s_waitcnt lgkmcnt(0)
	v_sub_u32_e32 v31, v26, v2
	v_cmp_lt_i32_e32 vcc, v0, v31
	s_and_saveexec_b64 s[66:67], vcc
	s_cbranch_execz .LBB6_83
; %bb.80:                               ;   in Loop: Header=BB6_6 Depth=1
	v_lshlrev_b64 v[26:27], 3, v[2:3]
	v_lshl_add_u64 v[26:27], v[28:29], 3, v[26:27]
	v_lshl_add_u64 v[26:27], v[12:13], 0, v[26:27]
	v_bfrev_b32_e32 v8, -2
	v_mov_b32_e32 v30, 0
	s_mov_b64 s[68:69], 0
	v_mov_b32_e32 v32, v0
.LBB6_81:                               ;   Parent Loop BB6_6 Depth=1
                                        ; =>  This Inner Loop Header: Depth=2
	global_load_dwordx2 v[34:35], v[26:27], off
	v_cmp_eq_u32_e32 vcc, s76, v8
	v_add_u32_e32 v33, 1, v32
	v_add_u32_e32 v32, 0x100, v32
	v_cmp_ge_i32_e64 s[0:1], v32, v31
	v_lshl_add_u64 v[26:27], v[26:27], 0, s[60:61]
	s_waitcnt vmcnt(0)
	v_cmp_gt_f32_e64 s[12:13], 0, v35
	s_nop 1
	v_cndmask_b32_e64 v35, v35, -v35, s[12:13]
	v_cmp_gt_f32_e64 s[12:13], 0, v34
	s_nop 1
	v_cndmask_b32_e64 v34, v34, -v34, s[12:13]
	v_add_f32_e32 v34, v34, v35
	v_cmp_lt_f32_e64 s[12:13], v30, v34
	s_or_b64 vcc, s[12:13], vcc
	v_cndmask_b32_e32 v8, v8, v33, vcc
	s_or_b64 s[68:69], s[0:1], s[68:69]
	v_cndmask_b32_e32 v30, v30, v34, vcc
	s_andn2_b64 exec, exec, s[68:69]
	s_cbranch_execnz .LBB6_81
; %bb.82:                               ;   in Loop: Header=BB6_6 Depth=1
	s_or_b64 exec, exec, s[68:69]
.LBB6_83:                               ;   in Loop: Header=BB6_6 Depth=1
	s_or_b64 exec, exec, s[66:67]
	v_cmp_lt_i32_e32 vcc, 1, v31
	ds_write_b32 v44, v30
	ds_write_b32 v7, v8
	s_waitcnt lgkmcnt(0)
	s_barrier
	s_and_saveexec_b64 s[66:67], vcc
	s_cbranch_execz .LBB6_117
; %bb.84:                               ;   in Loop: Header=BB6_6 Depth=1
	s_and_saveexec_b64 s[12:13], s[2:3]
	s_cbranch_execz .LBB6_90
; %bb.85:                               ;   in Loop: Header=BB6_6 Depth=1
	ds_read_b32 v26, v44 offset:512
	ds_read_b32 v27, v7 offset:512
	s_waitcnt lgkmcnt(1)
	v_cmp_lt_f32_e64 s[68:69], v30, v26
	v_cmp_nlt_f32_e32 vcc, v30, v26
	s_and_saveexec_b64 s[70:71], vcc
	s_cbranch_execz .LBB6_87
; %bb.86:                               ;   in Loop: Header=BB6_6 Depth=1
	v_cmp_eq_f32_e32 vcc, v30, v26
	s_waitcnt lgkmcnt(0)
	v_cmp_gt_i32_e64 s[0:1], v8, v27
	s_and_b64 s[0:1], vcc, s[0:1]
	s_andn2_b64 s[68:69], s[68:69], exec
	s_and_b64 s[0:1], s[0:1], exec
	s_or_b64 s[68:69], s[68:69], s[0:1]
.LBB6_87:                               ;   in Loop: Header=BB6_6 Depth=1
	s_or_b64 exec, exec, s[70:71]
	s_and_saveexec_b64 s[0:1], s[68:69]
	s_cbranch_execz .LBB6_89
; %bb.88:                               ;   in Loop: Header=BB6_6 Depth=1
	v_mov_b32_e32 v30, v26
	s_waitcnt lgkmcnt(0)
	v_mov_b32_e32 v8, v27
	ds_write_b32 v44, v26
	ds_write_b32 v7, v27
.LBB6_89:                               ;   in Loop: Header=BB6_6 Depth=1
	s_or_b64 exec, exec, s[0:1]
.LBB6_90:                               ;   in Loop: Header=BB6_6 Depth=1
	s_or_b64 exec, exec, s[12:13]
	s_waitcnt lgkmcnt(0)
	s_barrier
	s_and_b64 exec, exec, s[4:5]
	s_cbranch_execz .LBB6_117
; %bb.91:                               ;   in Loop: Header=BB6_6 Depth=1
	ds_read_b32 v26, v44 offset:256
	ds_read_b32 v27, v7 offset:256
	s_waitcnt lgkmcnt(1)
	v_cmp_lt_f32_e64 s[12:13], v30, v26
	v_cmp_nlt_f32_e32 vcc, v30, v26
	s_and_saveexec_b64 s[68:69], vcc
	s_cbranch_execz .LBB6_93
; %bb.92:                               ;   in Loop: Header=BB6_6 Depth=1
	v_cmp_eq_f32_e32 vcc, v30, v26
	s_waitcnt lgkmcnt(0)
	v_cmp_gt_i32_e64 s[0:1], v8, v27
	s_and_b64 s[0:1], vcc, s[0:1]
	s_andn2_b64 s[12:13], s[12:13], exec
	s_and_b64 s[0:1], s[0:1], exec
	s_or_b64 s[12:13], s[12:13], s[0:1]
.LBB6_93:                               ;   in Loop: Header=BB6_6 Depth=1
	s_or_b64 exec, exec, s[68:69]
	s_and_saveexec_b64 s[0:1], s[12:13]
	s_cbranch_execz .LBB6_95
; %bb.94:                               ;   in Loop: Header=BB6_6 Depth=1
	s_waitcnt lgkmcnt(0)
	v_mov_b32_e32 v8, v27
	v_mov_b32_e32 v30, v26
	ds_write_b32 v44, v26
	ds_write_b32 v7, v27
.LBB6_95:                               ;   in Loop: Header=BB6_6 Depth=1
	s_or_b64 exec, exec, s[0:1]
	ds_read_b32 v26, v44 offset:128
	s_waitcnt lgkmcnt(1)
	ds_read_b32 v27, v7 offset:128
	s_waitcnt lgkmcnt(1)
	v_cmp_lt_f32_e64 s[12:13], v30, v26
	v_cmp_nlt_f32_e32 vcc, v30, v26
	s_and_saveexec_b64 s[68:69], vcc
	s_cbranch_execz .LBB6_97
; %bb.96:                               ;   in Loop: Header=BB6_6 Depth=1
	v_cmp_eq_f32_e32 vcc, v30, v26
	s_waitcnt lgkmcnt(0)
	v_cmp_gt_i32_e64 s[0:1], v8, v27
	s_and_b64 s[0:1], vcc, s[0:1]
	s_andn2_b64 s[12:13], s[12:13], exec
	s_and_b64 s[0:1], s[0:1], exec
	s_or_b64 s[12:13], s[12:13], s[0:1]
.LBB6_97:                               ;   in Loop: Header=BB6_6 Depth=1
	s_or_b64 exec, exec, s[68:69]
	s_and_saveexec_b64 s[0:1], s[12:13]
	s_cbranch_execz .LBB6_99
; %bb.98:                               ;   in Loop: Header=BB6_6 Depth=1
	s_waitcnt lgkmcnt(0)
	v_mov_b32_e32 v8, v27
	v_mov_b32_e32 v30, v26
	ds_write_b32 v44, v26
	ds_write_b32 v7, v27
.LBB6_99:                               ;   in Loop: Header=BB6_6 Depth=1
	s_or_b64 exec, exec, s[0:1]
	ds_read_b32 v26, v44 offset:64
	s_waitcnt lgkmcnt(1)
	ds_read_b32 v27, v7 offset:64
	s_waitcnt lgkmcnt(1)
	v_cmp_lt_f32_e64 s[12:13], v30, v26
	v_cmp_nlt_f32_e32 vcc, v30, v26
	s_and_saveexec_b64 s[68:69], vcc
	s_cbranch_execz .LBB6_101
; %bb.100:                              ;   in Loop: Header=BB6_6 Depth=1
	v_cmp_eq_f32_e32 vcc, v30, v26
	s_waitcnt lgkmcnt(0)
	v_cmp_gt_i32_e64 s[0:1], v8, v27
	s_and_b64 s[0:1], vcc, s[0:1]
	s_andn2_b64 s[12:13], s[12:13], exec
	s_and_b64 s[0:1], s[0:1], exec
	s_or_b64 s[12:13], s[12:13], s[0:1]
.LBB6_101:                              ;   in Loop: Header=BB6_6 Depth=1
	s_or_b64 exec, exec, s[68:69]
	s_and_saveexec_b64 s[0:1], s[12:13]
	s_cbranch_execz .LBB6_103
; %bb.102:                              ;   in Loop: Header=BB6_6 Depth=1
	s_waitcnt lgkmcnt(0)
	v_mov_b32_e32 v8, v27
	v_mov_b32_e32 v30, v26
	ds_write_b32 v44, v26
	ds_write_b32 v7, v27
.LBB6_103:                              ;   in Loop: Header=BB6_6 Depth=1
	s_or_b64 exec, exec, s[0:1]
	ds_read_b32 v26, v44 offset:32
	s_waitcnt lgkmcnt(1)
	ds_read_b32 v27, v7 offset:32
	s_waitcnt lgkmcnt(1)
	v_cmp_lt_f32_e64 s[12:13], v30, v26
	v_cmp_nlt_f32_e32 vcc, v30, v26
	s_and_saveexec_b64 s[68:69], vcc
	s_cbranch_execz .LBB6_105
; %bb.104:                              ;   in Loop: Header=BB6_6 Depth=1
	v_cmp_eq_f32_e32 vcc, v30, v26
	s_waitcnt lgkmcnt(0)
	v_cmp_gt_i32_e64 s[0:1], v8, v27
	s_and_b64 s[0:1], vcc, s[0:1]
	s_andn2_b64 s[12:13], s[12:13], exec
	s_and_b64 s[0:1], s[0:1], exec
	s_or_b64 s[12:13], s[12:13], s[0:1]
.LBB6_105:                              ;   in Loop: Header=BB6_6 Depth=1
	s_or_b64 exec, exec, s[68:69]
	s_and_saveexec_b64 s[0:1], s[12:13]
	s_cbranch_execz .LBB6_107
; %bb.106:                              ;   in Loop: Header=BB6_6 Depth=1
	s_waitcnt lgkmcnt(0)
	v_mov_b32_e32 v8, v27
	v_mov_b32_e32 v30, v26
	ds_write_b32 v44, v26
	ds_write_b32 v7, v27
.LBB6_107:                              ;   in Loop: Header=BB6_6 Depth=1
	;; [unrolled: 28-line block ×4, first 2 shown]
	s_or_b64 exec, exec, s[0:1]
	ds_read_b32 v26, v44 offset:4
	s_waitcnt lgkmcnt(1)
	ds_read_b32 v27, v7 offset:4
	s_waitcnt lgkmcnt(1)
	v_cmp_eq_f32_e64 s[0:1], v30, v26
	s_waitcnt lgkmcnt(0)
	v_cmp_gt_i32_e64 s[12:13], v8, v27
	v_cmp_lt_f32_e32 vcc, v30, v26
	s_and_b64 s[0:1], s[0:1], s[12:13]
	s_or_b64 s[0:1], vcc, s[0:1]
	s_and_b64 exec, exec, s[0:1]
	s_cbranch_execz .LBB6_117
; %bb.116:                              ;   in Loop: Header=BB6_6 Depth=1
	ds_write_b32 v44, v26
	ds_write_b32 v7, v27
.LBB6_117:                              ;   in Loop: Header=BB6_6 Depth=1
	s_or_b64 exec, exec, s[66:67]
	s_and_saveexec_b64 s[0:1], s[10:11]
	s_cbranch_execz .LBB6_119
; %bb.118:                              ;   in Loop: Header=BB6_6 Depth=1
	ds_read_b32 v8, v9 offset:1024
	s_waitcnt lgkmcnt(0)
	ds_write_b32 v9, v8 offset:2064
.LBB6_119:                              ;   in Loop: Header=BB6_6 Depth=1
	s_or_b64 exec, exec, s[0:1]
	ds_read_b32 v8, v9 offset:2048
	s_waitcnt lgkmcnt(0)
	v_cmp_le_i32_e32 vcc, s33, v8
	v_readfirstlane_b32 s0, v8
	s_cbranch_vccnz .LBB6_162
; %bb.120:                              ;   in Loop: Header=BB6_6 Depth=1
	s_not_b32 s1, s0
	s_add_i32 s70, s28, s1
	v_cmp_gt_i32_e32 vcc, s70, v0
	v_bfrev_b32_e32 v8, -2
	v_mov_b32_e32 v30, 0
	s_and_saveexec_b64 s[66:67], vcc
	s_cbranch_execz .LBB6_124
; %bb.121:                              ;   in Loop: Header=BB6_6 Depth=1
	s_ashr_i32 s1, s0, 31
	v_lshlrev_b64 v[26:27], 3, v[28:29]
	v_lshl_add_u64 v[26:27], s[0:1], 3, v[26:27]
	v_lshl_add_u64 v[26:27], v[14:15], 0, v[26:27]
	v_bfrev_b32_e32 v8, -2
	v_mov_b32_e32 v30, 0
	s_mov_b64 s[68:69], 0
	v_mov_b32_e32 v29, v0
.LBB6_122:                              ;   Parent Loop BB6_6 Depth=1
                                        ; =>  This Inner Loop Header: Depth=2
	global_load_dwordx2 v[32:33], v[26:27], off
	v_cmp_eq_u32_e32 vcc, s76, v8
	v_add_u32_e32 v31, 1, v29
	v_add_u32_e32 v29, 0x100, v29
	v_cmp_le_i32_e64 s[0:1], s70, v29
	v_lshl_add_u64 v[26:27], v[26:27], 0, s[60:61]
	s_waitcnt vmcnt(0)
	v_cmp_gt_f32_e64 s[12:13], 0, v33
	s_nop 1
	v_cndmask_b32_e64 v33, v33, -v33, s[12:13]
	v_cmp_gt_f32_e64 s[12:13], 0, v32
	s_nop 1
	v_cndmask_b32_e64 v32, v32, -v32, s[12:13]
	v_add_f32_e32 v32, v32, v33
	v_cmp_lt_f32_e64 s[12:13], v30, v32
	s_or_b64 vcc, s[12:13], vcc
	v_cndmask_b32_e32 v8, v8, v31, vcc
	s_or_b64 s[68:69], s[0:1], s[68:69]
	v_cndmask_b32_e32 v30, v30, v32, vcc
	s_andn2_b64 exec, exec, s[68:69]
	s_cbranch_execnz .LBB6_122
; %bb.123:                              ;   in Loop: Header=BB6_6 Depth=1
	s_or_b64 exec, exec, s[68:69]
.LBB6_124:                              ;   in Loop: Header=BB6_6 Depth=1
	s_or_b64 exec, exec, s[66:67]
	s_cmp_lt_i32 s70, 2
	ds_write_b32 v44, v30
	ds_write_b32 v7, v8
	s_waitcnt lgkmcnt(0)
	s_barrier
	s_cbranch_scc1 .LBB6_159
; %bb.125:                              ;   in Loop: Header=BB6_6 Depth=1
	s_and_saveexec_b64 s[12:13], s[2:3]
	s_cbranch_execz .LBB6_131
; %bb.126:                              ;   in Loop: Header=BB6_6 Depth=1
	ds_read_b32 v26, v44 offset:512
	ds_read_b32 v27, v7 offset:512
	s_waitcnt lgkmcnt(1)
	v_cmp_lt_f32_e64 s[66:67], v30, v26
	v_cmp_nlt_f32_e32 vcc, v30, v26
	s_and_saveexec_b64 s[68:69], vcc
	s_cbranch_execz .LBB6_128
; %bb.127:                              ;   in Loop: Header=BB6_6 Depth=1
	v_cmp_eq_f32_e32 vcc, v30, v26
	s_waitcnt lgkmcnt(0)
	v_cmp_gt_i32_e64 s[0:1], v8, v27
	s_and_b64 s[0:1], vcc, s[0:1]
	s_andn2_b64 s[66:67], s[66:67], exec
	s_and_b64 s[0:1], s[0:1], exec
	s_or_b64 s[66:67], s[66:67], s[0:1]
.LBB6_128:                              ;   in Loop: Header=BB6_6 Depth=1
	s_or_b64 exec, exec, s[68:69]
	s_and_saveexec_b64 s[0:1], s[66:67]
	s_cbranch_execz .LBB6_130
; %bb.129:                              ;   in Loop: Header=BB6_6 Depth=1
	v_mov_b32_e32 v30, v26
	s_waitcnt lgkmcnt(0)
	v_mov_b32_e32 v8, v27
	ds_write_b32 v44, v26
	ds_write_b32 v7, v27
.LBB6_130:                              ;   in Loop: Header=BB6_6 Depth=1
	s_or_b64 exec, exec, s[0:1]
.LBB6_131:                              ;   in Loop: Header=BB6_6 Depth=1
	s_or_b64 exec, exec, s[12:13]
	s_waitcnt lgkmcnt(0)
	s_barrier
	s_and_saveexec_b64 s[66:67], s[4:5]
	s_cbranch_execz .LBB6_158
; %bb.132:                              ;   in Loop: Header=BB6_6 Depth=1
	ds_read_b32 v26, v44 offset:256
	ds_read_b32 v27, v7 offset:256
	s_waitcnt lgkmcnt(1)
	v_cmp_lt_f32_e64 s[12:13], v30, v26
	v_cmp_nlt_f32_e32 vcc, v30, v26
	s_and_saveexec_b64 s[68:69], vcc
	s_cbranch_execz .LBB6_134
; %bb.133:                              ;   in Loop: Header=BB6_6 Depth=1
	v_cmp_eq_f32_e32 vcc, v30, v26
	s_waitcnt lgkmcnt(0)
	v_cmp_gt_i32_e64 s[0:1], v8, v27
	s_and_b64 s[0:1], vcc, s[0:1]
	s_andn2_b64 s[12:13], s[12:13], exec
	s_and_b64 s[0:1], s[0:1], exec
	s_or_b64 s[12:13], s[12:13], s[0:1]
.LBB6_134:                              ;   in Loop: Header=BB6_6 Depth=1
	s_or_b64 exec, exec, s[68:69]
	s_and_saveexec_b64 s[0:1], s[12:13]
	s_cbranch_execz .LBB6_136
; %bb.135:                              ;   in Loop: Header=BB6_6 Depth=1
	s_waitcnt lgkmcnt(0)
	v_mov_b32_e32 v8, v27
	v_mov_b32_e32 v30, v26
	ds_write_b32 v44, v26
	ds_write_b32 v7, v27
.LBB6_136:                              ;   in Loop: Header=BB6_6 Depth=1
	s_or_b64 exec, exec, s[0:1]
	ds_read_b32 v26, v44 offset:128
	s_waitcnt lgkmcnt(1)
	ds_read_b32 v27, v7 offset:128
	s_waitcnt lgkmcnt(1)
	v_cmp_lt_f32_e64 s[12:13], v30, v26
	v_cmp_nlt_f32_e32 vcc, v30, v26
	s_and_saveexec_b64 s[68:69], vcc
	s_cbranch_execz .LBB6_138
; %bb.137:                              ;   in Loop: Header=BB6_6 Depth=1
	v_cmp_eq_f32_e32 vcc, v30, v26
	s_waitcnt lgkmcnt(0)
	v_cmp_gt_i32_e64 s[0:1], v8, v27
	s_and_b64 s[0:1], vcc, s[0:1]
	s_andn2_b64 s[12:13], s[12:13], exec
	s_and_b64 s[0:1], s[0:1], exec
	s_or_b64 s[12:13], s[12:13], s[0:1]
.LBB6_138:                              ;   in Loop: Header=BB6_6 Depth=1
	s_or_b64 exec, exec, s[68:69]
	s_and_saveexec_b64 s[0:1], s[12:13]
	s_cbranch_execz .LBB6_140
; %bb.139:                              ;   in Loop: Header=BB6_6 Depth=1
	s_waitcnt lgkmcnt(0)
	v_mov_b32_e32 v8, v27
	v_mov_b32_e32 v30, v26
	ds_write_b32 v44, v26
	ds_write_b32 v7, v27
.LBB6_140:                              ;   in Loop: Header=BB6_6 Depth=1
	s_or_b64 exec, exec, s[0:1]
	ds_read_b32 v26, v44 offset:64
	s_waitcnt lgkmcnt(1)
	;; [unrolled: 28-line block ×6, first 2 shown]
	ds_read_b32 v27, v7 offset:4
	s_waitcnt lgkmcnt(1)
	v_cmp_eq_f32_e64 s[0:1], v30, v26
	s_waitcnt lgkmcnt(0)
	v_cmp_gt_i32_e64 s[12:13], v8, v27
	v_cmp_lt_f32_e32 vcc, v30, v26
	s_and_b64 s[0:1], s[0:1], s[12:13]
	s_or_b64 s[0:1], vcc, s[0:1]
	s_and_b64 exec, exec, s[0:1]
	s_cbranch_execz .LBB6_158
; %bb.157:                              ;   in Loop: Header=BB6_6 Depth=1
	ds_write_b32 v44, v26
	ds_write_b32 v7, v27
.LBB6_158:                              ;   in Loop: Header=BB6_6 Depth=1
	s_or_b64 exec, exec, s[66:67]
.LBB6_159:                              ;   in Loop: Header=BB6_6 Depth=1
	s_and_saveexec_b64 s[0:1], s[10:11]
	s_cbranch_execz .LBB6_161
; %bb.160:                              ;   in Loop: Header=BB6_6 Depth=1
	ds_read_b32 v8, v9 offset:2064
	ds_read_b32 v26, v9 offset:1024
	s_waitcnt lgkmcnt(0)
	v_cmp_lt_f32_e32 vcc, v8, v26
	s_nop 1
	v_cndmask_b32_e32 v8, v8, v26, vcc
	ds_write_b32 v9, v8 offset:2064
.LBB6_161:                              ;   in Loop: Header=BB6_6 Depth=1
	s_or_b64 exec, exec, s[0:1]
.LBB6_162:                              ;   in Loop: Header=BB6_6 Depth=1
	s_waitcnt lgkmcnt(0)
	s_barrier
	ds_read_b64 v[26:27], v9 offset:2056
	ds_read_b32 v8, v9 offset:2064
	s_waitcnt lgkmcnt(1)
	v_mul_f32_e32 v31, 0x3f23f07b, v27
	s_waitcnt lgkmcnt(0)
	v_div_scale_f32 v29, s[0:1], v8, v8, v27
	v_rcp_f32_e32 v30, v29
	s_nop 0
	v_fma_f32 v32, -v29, v30, 1.0
	v_fmac_f32_e32 v30, v32, v30
	v_div_scale_f32 v32, vcc, v27, v8, v27
	v_mul_f32_e32 v33, v32, v30
	v_fma_f32 v34, -v29, v33, v32
	v_fmac_f32_e32 v33, v34, v30
	v_fma_f32 v29, -v29, v33, v32
	v_div_fmas_f32 v29, v29, v30, v33
	v_div_fixup_f32 v27, v29, v8, v27
	v_mul_f32_e32 v27, v31, v27
	v_cmp_ge_f32_e32 vcc, v26, v27
	s_cbranch_vccnz .LBB6_169
; %bb.163:                              ;   in Loop: Header=BB6_6 Depth=1
	ds_read_b32 v26, v9 offset:2048
	v_mul_f32_e32 v8, 0x3f23f07b, v8
	s_mov_b64 s[0:1], 0
	s_waitcnt lgkmcnt(0)
	v_add_u32_e32 v30, v26, v28
	v_ashrrev_i32_e32 v31, 31, v30
	v_lshl_add_u64 v[30:31], v[30:31], 3, s[30:31]
	global_load_dwordx2 v[30:31], v[30:31], off
	s_waitcnt vmcnt(0)
	v_cmp_gt_f32_e32 vcc, 0, v31
	s_nop 1
	v_cndmask_b32_e64 v27, v31, -v31, vcc
	v_cmp_gt_f32_e32 vcc, 0, v30
	s_nop 1
	v_cndmask_b32_e64 v29, v30, -v30, vcc
	v_add_f32_e32 v27, v29, v27
	v_cmp_ge_f32_e32 vcc, v27, v8
	v_mov_b32_e32 v8, 2
	s_and_saveexec_b64 s[12:13], vcc
	s_cbranch_execz .LBB6_168
; %bb.164:                              ;   in Loop: Header=BB6_6 Depth=1
	s_and_saveexec_b64 s[0:1], s[8:9]
	s_cbranch_execz .LBB6_167
; %bb.165:                              ;   in Loop: Header=BB6_6 Depth=1
	v_mad_u64_u32 v[30:31], s[8:9], s74, v2, v[0:1]
	v_add3_u32 v28, v0, v2, v28
	v_ashrrev_i32_e32 v31, 31, v30
	v_ashrrev_i32_e32 v29, 31, v28
	v_lshl_add_u64 v[30:31], v[30:31], 3, s[44:45]
	v_lshl_add_u64 v[28:29], v[28:29], 3, s[44:45]
	s_mov_b64 s[8:9], 0
	v_mov_b32_e32 v8, v0
.LBB6_166:                              ;   Parent Loop BB6_6 Depth=1
                                        ; =>  This Inner Loop Header: Depth=2
	global_load_dwordx2 v[32:33], v[28:29], off
	v_add_u32_e32 v8, 0x100, v8
	v_cmp_ge_i32_e32 vcc, v8, v40
	v_lshl_add_u64 v[28:29], v[28:29], 0, s[60:61]
	s_or_b64 s[8:9], vcc, s[8:9]
	s_waitcnt vmcnt(0)
	global_store_dwordx2 v[30:31], v[32:33], off
	v_lshl_add_u64 v[30:31], v[30:31], 0, s[60:61]
	s_andn2_b64 exec, exec, s[8:9]
	s_cbranch_execnz .LBB6_166
.LBB6_167:                              ;   in Loop: Header=BB6_6 Depth=1
	s_or_b64 exec, exec, s[0:1]
	s_mov_b64 s[0:1], exec
	v_mov_b32_e32 v8, 1
	s_barrier
.LBB6_168:                              ;   in Loop: Header=BB6_6 Depth=1
	s_or_b64 exec, exec, s[12:13]
	s_branch .LBB6_170
.LBB6_169:                              ;   in Loop: Header=BB6_6 Depth=1
	s_mov_b64 s[0:1], -1
	v_mov_b32_e32 v8, 1
	v_mov_b32_e32 v26, v2
.LBB6_170:                              ;   in Loop: Header=BB6_6 Depth=1
	v_add_u32_e32 v28, v8, v2
	v_add_u32_e32 v27, -1, v28
	v_cmp_ne_u32_e32 vcc, v26, v27
	s_and_saveexec_b64 s[8:9], vcc
	s_cbranch_execz .LBB6_186
; %bb.171:                              ;   in Loop: Header=BB6_6 Depth=1
	s_and_saveexec_b64 s[12:13], s[10:11]
	s_cbranch_execz .LBB6_173
; %bb.172:                              ;   in Loop: Header=BB6_6 Depth=1
	v_mul_lo_u32 v30, v27, s72
	v_ashrrev_i32_e32 v31, 31, v30
	v_lshl_add_u64 v[30:31], v[30:31], 3, s[24:25]
	global_load_dwordx2 v[30:31], v[30:31], off
	v_mul_lo_u32 v32, v26, s72
	v_ashrrev_i32_e32 v33, 31, v32
	v_lshl_add_u64 v[32:33], v[32:33], 3, s[24:25]
	s_waitcnt vmcnt(0)
	global_store_dwordx2 v[32:33], v[30:31], off
.LBB6_173:                              ;   in Loop: Header=BB6_6 Depth=1
	s_or_b64 exec, exec, s[12:13]
	v_sub_u32_e32 v29, v26, v28
	v_cmp_lt_i32_e32 vcc, v0, v29
	s_and_saveexec_b64 s[12:13], vcc
	s_cbranch_execz .LBB6_176
; %bb.174:                              ;   in Loop: Header=BB6_6 Depth=1
	v_add3_u32 v30, v0, v8, v2
	v_mad_u64_u32 v[30:31], s[66:67], s27, v30, v[26:27]
	v_mad_u64_u32 v[32:33], s[66:67], v27, s27, v[28:29]
	s_mov_b64 s[66:67], 0
	v_mov_b32_e32 v33, v0
.LBB6_175:                              ;   Parent Loop BB6_6 Depth=1
                                        ; =>  This Inner Loop Header: Depth=2
	v_add_u32_e32 v34, v32, v33
	v_ashrrev_i32_e32 v35, 31, v34
	v_lshl_add_u64 v[34:35], v[34:35], 3, s[24:25]
	global_load_dwordx2 v[34:35], v[34:35], off
	v_add_u32_e32 v33, 0x100, v33
	v_ashrrev_i32_e32 v31, 31, v30
	v_cmp_ge_i32_e32 vcc, v33, v29
	v_lshl_add_u64 v[36:37], v[30:31], 3, s[24:25]
	v_add_u32_e32 v30, s75, v30
	s_or_b64 s[66:67], vcc, s[66:67]
	s_waitcnt vmcnt(0)
	global_store_dwordx2 v[36:37], v[34:35], off
	s_andn2_b64 exec, exec, s[66:67]
	s_cbranch_execnz .LBB6_175
.LBB6_176:                              ;   in Loop: Header=BB6_6 Depth=1
	s_or_b64 exec, exec, s[12:13]
	v_xad_u32 v29, v26, -1, s28
	v_cmp_lt_i32_e32 vcc, v0, v29
	s_and_saveexec_b64 s[12:13], vcc
	s_cbranch_execz .LBB6_179
; %bb.177:                              ;   in Loop: Header=BB6_6 Depth=1
	v_mul_lo_u32 v27, v27, s27
	v_mad_u64_u32 v[30:31], s[66:67], s72, v26, 1
	v_add3_u32 v27, v26, v27, 1
	s_mov_b64 s[66:67], 0
	v_mov_b32_e32 v31, v0
.LBB6_178:                              ;   Parent Loop BB6_6 Depth=1
                                        ; =>  This Inner Loop Header: Depth=2
	v_add_u32_e32 v32, v27, v31
	v_ashrrev_i32_e32 v33, 31, v32
	v_lshl_add_u64 v[32:33], v[32:33], 3, s[24:25]
	global_load_dwordx2 v[32:33], v[32:33], off
	v_add_u32_e32 v34, v30, v31
	v_add_u32_e32 v31, 0x100, v31
	v_ashrrev_i32_e32 v35, 31, v34
	v_cmp_ge_i32_e32 vcc, v31, v29
	v_lshl_add_u64 v[34:35], v[34:35], 3, s[24:25]
	s_or_b64 s[66:67], vcc, s[66:67]
	s_waitcnt vmcnt(0)
	global_store_dwordx2 v[34:35], v[32:33], off
	s_andn2_b64 exec, exec, s[66:67]
	s_cbranch_execnz .LBB6_178
.LBB6_179:                              ;   in Loop: Header=BB6_6 Depth=1
	s_or_b64 exec, exec, s[12:13]
	v_cmp_lt_u32_e32 vcc, v0, v2
	s_barrier
	s_and_saveexec_b64 s[12:13], vcc
	s_cbranch_execz .LBB6_182
; %bb.180:                              ;   in Loop: Header=BB6_6 Depth=1
	v_ashrrev_i32_e32 v29, 31, v28
	s_mov_b64 s[66:67], 0
	v_mov_b32_e32 v30, v5
	v_mov_b32_e32 v27, v0
.LBB6_181:                              ;   Parent Loop BB6_6 Depth=1
                                        ; =>  This Inner Loop Header: Depth=2
	v_add_u32_e32 v34, v26, v30
	v_ashrrev_i32_e32 v31, 31, v30
	v_ashrrev_i32_e32 v35, 31, v34
	v_lshl_add_u64 v[32:33], v[30:31], 0, v[28:29]
	v_lshl_add_u64 v[34:35], v[34:35], 3, s[24:25]
	;; [unrolled: 1-line block ×3, first 2 shown]
	global_load_dwordx2 v[36:37], v[34:35], off
	global_load_dwordx2 v[38:39], v[32:33], off offset:-8
	v_add_u32_e32 v27, 0x100, v27
	v_cmp_ge_u32_e32 vcc, v27, v2
	s_or_b64 s[66:67], vcc, s[66:67]
	v_add_u32_e32 v30, s75, v30
	s_waitcnt vmcnt(1)
	global_store_dwordx2 v[32:33], v[36:37], off offset:-8
	s_waitcnt vmcnt(1)
	global_store_dwordx2 v[34:35], v[38:39], off
	s_andn2_b64 exec, exec, s[66:67]
	s_cbranch_execnz .LBB6_181
.LBB6_182:                              ;   in Loop: Header=BB6_6 Depth=1
	s_or_b64 exec, exec, s[12:13]
	v_cmp_lt_u32_e32 vcc, v0, v28
	s_and_b64 exec, exec, vcc
	s_cbranch_execz .LBB6_185
; %bb.183:                              ;   in Loop: Header=BB6_6 Depth=1
	v_lshl_add_u64 v[30:31], v[16:17], 0, v[8:9]
	v_add_u32_e32 v32, v16, v26
	v_lshl_add_u64 v[30:31], v[30:31], 0, v[2:3]
	v_ashrrev_i32_e32 v33, 31, v32
	v_lshl_add_u64 v[30:31], v[30:31], 3, -8
	v_lshlrev_b64 v[32:33], 3, v[32:33]
	s_mov_b64 s[12:13], 0
	s_mov_b64 s[66:67], s[30:31]
	v_mov_b32_e32 v8, v0
.LBB6_184:                              ;   Parent Loop BB6_6 Depth=1
                                        ; =>  This Inner Loop Header: Depth=2
	v_lshl_add_u64 v[36:37], s[66:67], 0, v[32:33]
	v_lshl_add_u64 v[34:35], s[66:67], 0, v[30:31]
	global_load_dwordx2 v[38:39], v[36:37], off
	global_load_dwordx2 v[40:41], v[34:35], off
	v_add_u32_e32 v8, 0x100, v8
	s_add_u32 s66, s66, s56
	s_addc_u32 s67, s67, s57
	v_cmp_ge_u32_e32 vcc, v8, v28
	s_or_b64 s[12:13], vcc, s[12:13]
	s_waitcnt vmcnt(1)
	global_store_dwordx2 v[34:35], v[38:39], off
	s_waitcnt vmcnt(1)
	global_store_dwordx2 v[36:37], v[40:41], off
	s_andn2_b64 exec, exec, s[12:13]
	s_cbranch_execnz .LBB6_184
.LBB6_185:                              ;   in Loop: Header=BB6_6 Depth=1
	s_barrier
.LBB6_186:                              ;   in Loop: Header=BB6_6 Depth=1
	s_or_b64 exec, exec, s[8:9]
	s_xor_b64 s[0:1], s[0:1], -1
	s_and_saveexec_b64 s[8:9], s[0:1]
	s_xor_b64 s[0:1], exec, s[8:9]
	s_cbranch_execz .LBB6_206
; %bb.187:                              ;   in Loop: Header=BB6_6 Depth=1
	v_cmp_gt_i32_e32 vcc, s73, v2
	s_and_saveexec_b64 s[8:9], vcc
	s_cbranch_execz .LBB6_203
; %bb.188:                              ;   in Loop: Header=BB6_6 Depth=1
	v_mul_lo_u32 v8, v46, s28
	v_lshl_add_u64 v[22:23], v[8:9], 3, v[24:25]
	global_load_dwordx2 v[22:23], v[22:23], off offset:8
	s_nop 0
	global_load_dwordx2 v[28:29], v[20:21], off offset:8
	s_waitcnt vmcnt(1)
	v_mov_b32_e32 v24, v23
	v_mov_b32_e32 v25, v22
	s_waitcnt vmcnt(0)
	v_cmp_ngt_f32_e64 s[12:13], |v28|, |v29|
                                        ; implicit-def: $vgpr22_vgpr23
	s_and_saveexec_b64 s[66:67], s[12:13]
	s_xor_b64 s[66:67], exec, s[66:67]
	s_cbranch_execz .LBB6_190
; %bb.189:                              ;   in Loop: Header=BB6_6 Depth=1
	v_div_scale_f32 v19, s[68:69], v29, v29, v28
	v_rcp_f32_e32 v22, v19
	v_div_scale_f32 v23, vcc, v28, v29, v28
	v_fma_f32 v27, -v19, v22, 1.0
	v_fmac_f32_e32 v22, v27, v22
	v_mul_f32_e32 v27, v23, v22
	v_fma_f32 v30, -v19, v27, v23
	v_fmac_f32_e32 v27, v30, v22
	v_fma_f32 v19, -v19, v27, v23
	v_div_fmas_f32 v19, v19, v22, v27
	v_div_fixup_f32 v22, v19, v29, v28
	v_fma_f32 v19, v28, v22, v29
	v_div_scale_f32 v23, s[68:69], v19, v19, 1.0
	v_rcp_f32_e32 v27, v23
	s_nop 0
	v_fma_f32 v30, -v23, v27, 1.0
	v_fmac_f32_e32 v27, v30, v27
	v_div_scale_f32 v30, vcc, 1.0, v19, 1.0
	v_mul_f32_e32 v31, v30, v27
	v_fma_f32 v32, -v23, v31, v30
	v_fmac_f32_e32 v31, v32, v27
	v_fma_f32 v23, -v23, v31, v30
	v_div_fmas_f32 v23, v23, v27, v31
	v_div_fixup_f32 v30, v23, v19, 1.0
	v_pk_fma_f32 v[32:33], v[22:23], v[24:25], v[24:25] op_sel:[0,0,1] op_sel_hi:[0,1,0]
	v_pk_fma_f32 v[22:23], v[22:23], v[24:25], v[24:25] op_sel:[0,0,1] op_sel_hi:[0,1,0] neg_lo:[0,0,1] neg_hi:[0,0,1]
	v_mov_b32_e32 v23, v33
	v_pk_mul_f32 v[22:23], v[30:31], v[22:23] op_sel_hi:[0,1]
                                        ; implicit-def: $vgpr24_vgpr25
.LBB6_190:                              ;   in Loop: Header=BB6_6 Depth=1
	s_andn2_saveexec_b64 s[66:67], s[66:67]
	s_cbranch_execz .LBB6_192
; %bb.191:                              ;   in Loop: Header=BB6_6 Depth=1
	v_div_scale_f32 v19, s[68:69], v28, v28, v29
	v_rcp_f32_e32 v22, v19
	v_div_scale_f32 v23, vcc, v29, v28, v29
	v_fma_f32 v27, -v19, v22, 1.0
	v_fmac_f32_e32 v22, v27, v22
	v_mul_f32_e32 v27, v23, v22
	v_fma_f32 v30, -v19, v27, v23
	v_fmac_f32_e32 v27, v30, v22
	v_fma_f32 v19, -v19, v27, v23
	v_div_fmas_f32 v19, v19, v22, v27
	v_div_fixup_f32 v22, v19, v28, v29
	v_fma_f32 v19, v29, v22, v28
	v_div_scale_f32 v23, s[68:69], v19, v19, 1.0
	v_rcp_f32_e32 v27, v23
	s_nop 0
	v_fma_f32 v30, -v23, v27, 1.0
	v_fmac_f32_e32 v27, v30, v27
	v_div_scale_f32 v30, vcc, 1.0, v19, 1.0
	v_mul_f32_e32 v31, v30, v27
	v_fma_f32 v32, -v23, v31, v30
	v_fmac_f32_e32 v31, v32, v27
	v_fma_f32 v23, -v23, v31, v30
	v_div_fmas_f32 v23, v23, v27, v31
	v_div_fixup_f32 v30, v23, v19, 1.0
	v_pk_fma_f32 v[32:33], v[22:23], v[24:25], v[24:25] op_sel:[0,1,0] op_sel_hi:[0,0,1]
	v_pk_fma_f32 v[22:23], v[22:23], v[24:25], v[24:25] op_sel:[0,1,0] op_sel_hi:[0,0,1] neg_lo:[1,0,0] neg_hi:[1,0,0]
	v_mov_b32_e32 v23, v33
	v_pk_mul_f32 v[22:23], v[30:31], v[22:23] op_sel_hi:[0,1]
.LBB6_192:                              ;   in Loop: Header=BB6_6 Depth=1
	s_or_b64 exec, exec, s[66:67]
	global_load_dwordx2 v[24:25], v[20:21], off
	s_waitcnt vmcnt(0)
	v_mov_b32_e32 v30, v25
	v_mov_b32_e32 v31, v24
                                        ; implicit-def: $vgpr24_vgpr25
	s_and_saveexec_b64 s[66:67], s[12:13]
	s_xor_b64 s[12:13], exec, s[66:67]
	s_cbranch_execz .LBB6_194
; %bb.193:                              ;   in Loop: Header=BB6_6 Depth=1
	v_div_scale_f32 v19, s[66:67], v29, v29, v28
	v_rcp_f32_e32 v24, v19
	v_div_scale_f32 v25, vcc, v28, v29, v28
	v_fma_f32 v27, -v19, v24, 1.0
	v_fmac_f32_e32 v24, v27, v24
	v_mul_f32_e32 v27, v25, v24
	v_fma_f32 v32, -v19, v27, v25
	v_fmac_f32_e32 v27, v32, v24
	v_fma_f32 v19, -v19, v27, v25
	v_div_fmas_f32 v19, v19, v24, v27
	v_div_fixup_f32 v24, v19, v29, v28
	v_fma_f32 v19, v28, v24, v29
	v_div_scale_f32 v25, s[66:67], v19, v19, 1.0
	v_rcp_f32_e32 v27, v25
	s_nop 0
	v_fma_f32 v32, -v25, v27, 1.0
	v_fmac_f32_e32 v27, v32, v27
	v_div_scale_f32 v32, vcc, 1.0, v19, 1.0
	v_mul_f32_e32 v33, v32, v27
	v_fma_f32 v34, -v25, v33, v32
	v_fmac_f32_e32 v33, v34, v27
	v_fma_f32 v25, -v25, v33, v32
	v_div_fmas_f32 v25, v25, v27, v33
	v_div_fixup_f32 v32, v25, v19, 1.0
	v_pk_fma_f32 v[34:35], v[24:25], v[30:31], v[30:31] op_sel:[0,0,1] op_sel_hi:[1,1,0] neg_lo:[0,0,1] neg_hi:[0,0,1]
	v_pk_fma_f32 v[24:25], v[24:25], v[30:31], v[30:31] op_sel:[0,0,1] op_sel_hi:[0,1,0]
	v_mov_b32_e32 v35, v25
	v_pk_mul_f32 v[24:25], v[32:33], v[34:35] op_sel_hi:[0,1]
                                        ; implicit-def: $vgpr30_vgpr31
.LBB6_194:                              ;   in Loop: Header=BB6_6 Depth=1
	s_andn2_saveexec_b64 s[12:13], s[12:13]
	s_cbranch_execz .LBB6_196
; %bb.195:                              ;   in Loop: Header=BB6_6 Depth=1
	v_div_scale_f32 v19, s[66:67], v28, v28, v29
	v_rcp_f32_e32 v24, v19
	v_div_scale_f32 v25, vcc, v29, v28, v29
	v_fma_f32 v27, -v19, v24, 1.0
	v_fmac_f32_e32 v24, v27, v24
	v_mul_f32_e32 v27, v25, v24
	v_fma_f32 v32, -v19, v27, v25
	v_fmac_f32_e32 v27, v32, v24
	v_fma_f32 v19, -v19, v27, v25
	v_div_fmas_f32 v19, v19, v24, v27
	v_div_fixup_f32 v24, v19, v28, v29
	v_fma_f32 v19, v29, v24, v28
	v_div_scale_f32 v25, s[66:67], v19, v19, 1.0
	v_rcp_f32_e32 v27, v25
	s_nop 0
	v_fma_f32 v32, -v25, v27, 1.0
	v_fmac_f32_e32 v27, v32, v27
	v_div_scale_f32 v32, vcc, 1.0, v19, 1.0
	v_mul_f32_e32 v33, v32, v27
	v_fma_f32 v34, -v25, v33, v32
	v_fmac_f32_e32 v33, v34, v27
	v_fma_f32 v25, -v25, v33, v32
	v_div_fmas_f32 v25, v25, v27, v33
	v_div_fixup_f32 v32, v25, v19, 1.0
	v_pk_fma_f32 v[34:35], v[24:25], v[30:31], v[30:31] op_sel:[0,1,0] op_sel_hi:[1,0,1] neg_lo:[1,0,0] neg_hi:[1,0,0]
	v_pk_fma_f32 v[24:25], v[24:25], v[30:31], v[30:31] op_sel:[0,1,0] op_sel_hi:[0,0,1]
	v_mov_b32_e32 v35, v25
	v_pk_mul_f32 v[24:25], v[32:33], v[34:35] op_sel_hi:[0,1]
.LBB6_196:                              ;   in Loop: Header=BB6_6 Depth=1
	s_or_b64 exec, exec, s[12:13]
	v_mul_f32_e32 v30, v23, v25
	v_pk_fma_f32 v[30:31], v[22:23], v[24:25], v[30:31] op_sel_hi:[1,1,0] neg_lo:[1,0,0] neg_hi:[1,0,0]
	v_pk_mul_f32 v[32:33], v[22:23], v[24:25] op_sel_hi:[0,1]
	v_pk_mul_f32 v[34:35], v[22:23], v[24:25] op_sel_hi:[1,0]
	v_mov_b32_e32 v19, v33
	v_mov_b32_e32 v31, v35
	v_pk_add_f32 v[30:31], v[30:31], v[18:19]
	s_nop 0
	v_pk_mul_f32 v[32:33], v[28:29], v[30:31]
	v_pk_mul_f32 v[28:29], v[28:29], v[30:31] op_sel:[0,1] op_sel_hi:[1,0]
	v_sub_f32_e32 v19, v32, v33
	v_add_f32_e32 v27, v28, v29
	v_cmp_ngt_f32_e64 s[12:13], |v19|, |v27|
                                        ; implicit-def: $vgpr28_vgpr29
	s_and_saveexec_b64 s[66:67], s[12:13]
	s_xor_b64 s[12:13], exec, s[66:67]
	s_cbranch_execz .LBB6_198
; %bb.197:                              ;   in Loop: Header=BB6_6 Depth=1
	v_div_scale_f32 v28, s[66:67], v27, v27, v19
	v_rcp_f32_e32 v29, v28
	v_div_scale_f32 v30, vcc, v19, v27, v19
	v_fma_f32 v31, -v28, v29, 1.0
	v_fmac_f32_e32 v29, v31, v29
	v_mul_f32_e32 v31, v30, v29
	v_fma_f32 v32, -v28, v31, v30
	v_fmac_f32_e32 v31, v32, v29
	v_fma_f32 v28, -v28, v31, v30
	v_div_fmas_f32 v28, v28, v29, v31
	v_div_fixup_f32 v29, v28, v27, v19
	v_fmac_f32_e32 v27, v19, v29
	v_div_scale_f32 v19, s[66:67], v27, v27, 1.0
	v_rcp_f32_e32 v28, v19
	s_nop 0
	v_fma_f32 v30, -v19, v28, 1.0
	v_fmac_f32_e32 v28, v30, v28
	v_div_scale_f32 v30, vcc, 1.0, v27, 1.0
	v_mul_f32_e32 v31, v30, v28
	v_fma_f32 v32, -v19, v31, v30
	v_fmac_f32_e32 v31, v32, v28
	v_fma_f32 v19, -v19, v31, v30
	v_div_fmas_f32 v19, v19, v28, v31
	v_mul_f32_e32 v28, 0, v29
	v_div_fixup_f32 v30, v19, v27, 1.0
	v_pk_add_f32 v[28:29], v[28:29], s[50:51]
                                        ; implicit-def: $vgpr19
                                        ; implicit-def: $vgpr27
	s_nop 0
	v_pk_mul_f32 v[28:29], v[28:29], v[30:31] op_sel_hi:[1,0]
.LBB6_198:                              ;   in Loop: Header=BB6_6 Depth=1
	s_andn2_saveexec_b64 s[12:13], s[12:13]
	s_cbranch_execz .LBB6_200
; %bb.199:                              ;   in Loop: Header=BB6_6 Depth=1
	v_div_scale_f32 v28, s[66:67], v19, v19, v27
	v_rcp_f32_e32 v29, v28
	v_div_scale_f32 v30, vcc, v27, v19, v27
	v_fma_f32 v31, -v28, v29, 1.0
	v_fmac_f32_e32 v29, v31, v29
	v_mul_f32_e32 v31, v30, v29
	v_fma_f32 v32, -v28, v31, v30
	v_fmac_f32_e32 v31, v32, v29
	v_fma_f32 v28, -v28, v31, v30
	v_div_fmas_f32 v28, v28, v29, v31
	v_div_fixup_f32 v29, v28, v19, v27
	v_fmac_f32_e32 v19, v27, v29
	v_div_scale_f32 v27, s[66:67], v19, v19, 1.0
	v_rcp_f32_e32 v28, v27
	s_nop 0
	v_fma_f32 v30, -v27, v28, 1.0
	v_fmac_f32_e32 v28, v30, v28
	v_div_scale_f32 v30, vcc, 1.0, v19, 1.0
	v_mul_f32_e32 v31, v30, v28
	v_fma_f32 v32, -v27, v31, v30
	v_fmac_f32_e32 v31, v32, v28
	v_fma_f32 v27, -v27, v31, v30
	v_div_fmas_f32 v27, v27, v28, v31
	v_div_fixup_f32 v28, v27, v19, 1.0
	v_mul_f32_e32 v19, 0, v29
	v_sub_f32_e32 v30, 0, v29
	v_add_f32_e32 v31, 1.0, v19
	v_pk_mul_f32 v[28:29], v[30:31], v[28:29] op_sel_hi:[1,0]
.LBB6_200:                              ;   in Loop: Header=BB6_6 Depth=1
	s_or_b64 exec, exec, s[12:13]
	v_add_u32_e32 v19, v2, v6
	v_cmp_gt_i32_e32 vcc, s28, v19
	s_and_b64 exec, exec, vcc
	s_cbranch_execz .LBB6_203
; %bb.201:                              ;   in Loop: Header=BB6_6 Depth=1
	v_mul_lo_u32 v27, s72, v2
	v_add_u32_e32 v38, v6, v27
	v_mad_u64_u32 v[42:43], s[12:13], s74, v2, v[6:7]
	v_ashrrev_i32_e32 v39, 31, v38
	v_add_u32_e32 v8, v19, v8
	v_ashrrev_i32_e32 v43, 31, v42
	v_mov_b32_e32 v30, v28
	v_mov_b32_e32 v31, v28
	;; [unrolled: 1-line block ×9, first 2 shown]
	v_add_u32_e32 v36, v45, v27
	v_lshl_add_u64 v[38:39], v[38:39], 3, s[46:47]
	v_lshl_add_u64 v[40:41], v[8:9], 3, s[44:45]
	;; [unrolled: 1-line block ×3, first 2 shown]
	s_mov_b64 s[12:13], 0
.LBB6_202:                              ;   Parent Loop BB6_6 Depth=1
                                        ; =>  This Inner Loop Header: Depth=2
	global_load_dwordx2 v[48:49], v[42:43], off
	global_load_dwordx2 v[50:51], v[40:41], off
	v_add_u32_e32 v19, 0x100, v19
	v_ashrrev_i32_e32 v37, 31, v36
	v_cmp_le_i32_e32 vcc, s28, v19
	s_or_b64 s[12:13], vcc, s[12:13]
	s_waitcnt vmcnt(1)
	v_pk_mul_f32 v[52:53], v[32:33], v[48:49] op_sel:[0,1] op_sel_hi:[1,0]
	s_nop 0
	v_pk_fma_f32 v[54:55], v[22:23], v[48:49], v[52:53] neg_lo:[0,0,1] neg_hi:[0,0,1]
	v_pk_fma_f32 v[48:49], v[22:23], v[48:49], v[52:53]
	s_nop 0
	v_mov_b32_e32 v55, v49
	s_waitcnt vmcnt(0)
	v_pk_add_f32 v[48:49], v[54:55], v[50:51] neg_lo:[0,1] neg_hi:[0,1]
	s_nop 0
	v_pk_mul_f32 v[50:51], v[30:31], v[48:49]
	s_nop 0
	v_pk_fma_f32 v[52:53], v[28:29], v[48:49], v[50:51] op_sel:[0,0,1] op_sel_hi:[1,1,0] neg_lo:[0,0,1] neg_hi:[0,0,1]
	v_pk_fma_f32 v[48:49], v[28:29], v[48:49], v[50:51] op_sel:[0,0,1] op_sel_hi:[1,1,0]
	s_nop 0
	v_mov_b32_e32 v53, v49
	global_store_dwordx2 v[38:39], v[52:53], off
	global_load_dwordx2 v[48:49], v[40:41], off
	global_load_dwordx2 v[50:51], v[42:43], off
	v_lshl_add_u64 v[52:53], v[36:37], 3, s[24:25]
	v_add_u32_e32 v36, 0x100, v36
	v_lshl_add_u64 v[38:39], v[38:39], 0, s[60:61]
	v_lshl_add_u64 v[40:41], v[40:41], 0, s[60:61]
	;; [unrolled: 1-line block ×3, first 2 shown]
	s_waitcnt vmcnt(1)
	v_pk_mul_f32 v[54:55], v[34:35], v[48:49] op_sel:[0,1] op_sel_hi:[1,0]
	s_nop 0
	v_pk_fma_f32 v[56:57], v[24:25], v[48:49], v[54:55] neg_lo:[0,0,1] neg_hi:[0,0,1]
	v_pk_fma_f32 v[48:49], v[24:25], v[48:49], v[54:55]
	s_nop 0
	v_mov_b32_e32 v57, v49
	s_waitcnt vmcnt(0)
	v_pk_add_f32 v[48:49], v[56:57], v[50:51] neg_lo:[0,1] neg_hi:[0,1]
	s_nop 0
	v_pk_mul_f32 v[50:51], v[30:31], v[48:49]
	s_nop 0
	v_pk_fma_f32 v[54:55], v[28:29], v[48:49], v[50:51] op_sel:[0,0,1] op_sel_hi:[1,1,0] neg_lo:[0,0,1] neg_hi:[0,0,1]
	v_pk_fma_f32 v[48:49], v[28:29], v[48:49], v[50:51] op_sel:[0,0,1] op_sel_hi:[1,1,0]
	s_nop 0
	v_mov_b32_e32 v55, v49
	global_store_dwordx2 v[52:53], v[54:55], off
	s_andn2_b64 exec, exec, s[12:13]
	s_cbranch_execnz .LBB6_202
.LBB6_203:                              ;   in Loop: Header=BB6_6 Depth=1
	s_or_b64 exec, exec, s[8:9]
	s_and_saveexec_b64 s[8:9], s[10:11]
	s_cbranch_execz .LBB6_205
; %bb.204:                              ;   in Loop: Header=BB6_6 Depth=1
	global_load_dwordx2 v[22:23], v[20:21], off
	v_mul_lo_u32 v28, v2, s27
	v_lshl_add_u64 v[24:25], v[2:3], 3, s[24:25]
	v_ashrrev_i32_e32 v29, 31, v28
	v_lshl_add_u64 v[24:25], v[28:29], 3, v[24:25]
	s_waitcnt vmcnt(0)
	global_store_dwordx2 v[24:25], v[22:23], off
	global_load_dwordx2 v[20:21], v[20:21], off offset:8
	v_mul_lo_u32 v22, v46, s74
	v_ashrrev_i32_e32 v23, 31, v22
	s_waitcnt vmcnt(0)
	global_store_dwordx2 v[24:25], v[20:21], off offset:8
	v_lshl_add_u64 v[20:21], v[22:23], 3, s[30:31]
	global_load_dwordx2 v[20:21], v[20:21], off
	v_mul_lo_u32 v22, v46, s72
	v_ashrrev_i32_e32 v23, 31, v22
	v_lshl_add_u64 v[22:23], v[22:23], 3, s[24:25]
	s_waitcnt vmcnt(0)
	global_store_dwordx2 v[22:23], v[20:21], off
.LBB6_205:                              ;   in Loop: Header=BB6_6 Depth=1
	s_or_b64 exec, exec, s[8:9]
	s_barrier
                                        ; implicit-def: $vgpr22_vgpr23
                                        ; implicit-def: $vgpr19
                                        ; implicit-def: $vgpr20_vgpr21
.LBB6_206:                              ;   in Loop: Header=BB6_6 Depth=1
	s_or_saveexec_b64 s[8:9], s[0:1]
	s_mov_b64 s[0:1], 0
	v_mov_b32_e32 v8, 2
	s_mov_b64 s[12:13], 0
	s_xor_b64 exec, exec, s[8:9]
	s_cbranch_execz .LBB6_217
; %bb.207:                              ;   in Loop: Header=BB6_6 Depth=1
	global_load_dwordx2 v[20:21], v[20:21], off
                                        ; implicit-def: $vgpr24_vgpr25
	s_waitcnt vmcnt(0)
	v_cmp_ngt_f32_e64 s[12:13], |v20|, |v21|
	s_and_saveexec_b64 s[66:67], s[12:13]
	s_xor_b64 s[12:13], exec, s[66:67]
	s_cbranch_execnz .LBB6_211
; %bb.208:                              ;   in Loop: Header=BB6_6 Depth=1
	s_andn2_saveexec_b64 s[12:13], s[12:13]
	s_cbranch_execnz .LBB6_212
.LBB6_209:                              ;   in Loop: Header=BB6_6 Depth=1
	s_or_b64 exec, exec, s[12:13]
	s_and_saveexec_b64 s[12:13], s[10:11]
	s_cbranch_execnz .LBB6_213
.LBB6_210:                              ;   in Loop: Header=BB6_6 Depth=1
	s_or_b64 exec, exec, s[12:13]
	s_and_saveexec_b64 s[12:13], s[6:7]
	s_cbranch_execnz .LBB6_214
	s_branch .LBB6_216
.LBB6_211:                              ;   in Loop: Header=BB6_6 Depth=1
	v_div_scale_f32 v8, s[66:67], v21, v21, v20
	v_rcp_f32_e32 v24, v8
	v_div_scale_f32 v25, vcc, v20, v21, v20
	v_fma_f32 v27, -v8, v24, 1.0
	v_fmac_f32_e32 v24, v27, v24
	v_mul_f32_e32 v27, v25, v24
	v_fma_f32 v28, -v8, v27, v25
	v_fmac_f32_e32 v27, v28, v24
	v_fma_f32 v8, -v8, v27, v25
	v_div_fmas_f32 v8, v8, v24, v27
	v_div_fixup_f32 v25, v8, v21, v20
	v_fma_f32 v8, v20, v25, v21
	v_div_scale_f32 v24, s[66:67], v8, v8, 1.0
	v_rcp_f32_e32 v27, v24
	s_nop 0
	v_fma_f32 v28, -v24, v27, 1.0
	v_fmac_f32_e32 v27, v28, v27
	v_div_scale_f32 v28, vcc, 1.0, v8, 1.0
	v_mul_f32_e32 v29, v28, v27
	v_fma_f32 v30, -v24, v29, v28
	v_fmac_f32_e32 v29, v30, v27
	v_fma_f32 v24, -v24, v29, v28
	v_div_fmas_f32 v24, v24, v27, v29
	v_div_fixup_f32 v8, v24, v8, 1.0
	v_mul_f32_e32 v24, 0, v25
	v_pk_add_f32 v[24:25], v[24:25], s[50:51]
	s_nop 0
	v_pk_mul_f32 v[24:25], v[24:25], v[8:9] op_sel_hi:[1,0]
	s_andn2_saveexec_b64 s[12:13], s[12:13]
	s_cbranch_execz .LBB6_209
.LBB6_212:                              ;   in Loop: Header=BB6_6 Depth=1
	v_div_scale_f32 v8, s[66:67], v20, v20, v21
	v_rcp_f32_e32 v24, v8
	v_div_scale_f32 v25, vcc, v21, v20, v21
	v_fma_f32 v27, -v8, v24, 1.0
	v_fmac_f32_e32 v24, v27, v24
	v_mul_f32_e32 v27, v25, v24
	v_fma_f32 v28, -v8, v27, v25
	v_fmac_f32_e32 v27, v28, v24
	v_fma_f32 v8, -v8, v27, v25
	v_div_fmas_f32 v8, v8, v24, v27
	v_div_fixup_f32 v24, v8, v20, v21
	v_fma_f32 v8, v21, v24, v20
	v_div_scale_f32 v25, s[66:67], v8, v8, 1.0
	v_rcp_f32_e32 v27, v25
	s_nop 0
	v_fma_f32 v28, -v25, v27, 1.0
	v_fmac_f32_e32 v27, v28, v27
	v_div_scale_f32 v28, vcc, 1.0, v8, 1.0
	v_mul_f32_e32 v29, v28, v27
	v_fma_f32 v30, -v25, v29, v28
	v_fmac_f32_e32 v29, v30, v27
	v_fma_f32 v25, -v25, v29, v28
	v_div_fmas_f32 v25, v25, v27, v29
	v_div_fixup_f32 v8, v25, v8, 1.0
	v_mul_f32_e32 v25, 0, v24
	v_sub_f32_e32 v24, 0, v24
	v_add_f32_e32 v25, 1.0, v25
	v_pk_mul_f32 v[24:25], v[24:25], v[8:9] op_sel_hi:[1,0]
	s_or_b64 exec, exec, s[12:13]
	s_and_saveexec_b64 s[12:13], s[10:11]
	s_cbranch_execz .LBB6_210
.LBB6_213:                              ;   in Loop: Header=BB6_6 Depth=1
	v_mul_lo_u32 v28, v2, s72
	v_ashrrev_i32_e32 v29, 31, v28
	v_lshl_add_u64 v[28:29], v[28:29], 3, s[24:25]
	global_store_dwordx2 v[28:29], v[20:21], off
	s_or_b64 exec, exec, s[12:13]
	s_and_saveexec_b64 s[12:13], s[6:7]
	s_cbranch_execz .LBB6_216
.LBB6_214:                              ;   in Loop: Header=BB6_6 Depth=1
	v_mul_lo_u32 v20, v2, s27
	v_mov_b32_e32 v28, v24
	v_mov_b32_e32 v29, v24
	;; [unrolled: 1-line block ×3, first 2 shown]
	v_ashrrev_i32_e32 v21, 31, v20
	s_mov_b64 s[6:7], 0
	v_mov_b32_e32 v27, v0
.LBB6_215:                              ;   Parent Loop BB6_6 Depth=1
                                        ; =>  This Inner Loop Header: Depth=2
	v_add_u32_e32 v8, v2, v27
	v_lshl_add_u64 v[30:31], v[8:9], 0, v[22:23]
	v_lshl_add_u64 v[30:31], v[30:31], 3, s[30:31]
	global_load_dwordx2 v[30:31], v[30:31], off offset:8
	v_add_u32_e32 v27, 0x100, v27
	v_lshl_add_u64 v[32:33], v[8:9], 0, v[20:21]
	v_cmp_ge_i32_e32 vcc, v27, v19
	v_lshl_add_u64 v[32:33], v[32:33], 3, s[24:25]
	s_or_b64 s[6:7], vcc, s[6:7]
	s_waitcnt vmcnt(0)
	v_pk_mul_f32 v[34:35], v[28:29], v[30:31] op_sel:[0,1] op_sel_hi:[1,0]
	s_nop 0
	v_pk_fma_f32 v[36:37], v[24:25], v[30:31], v[34:35] neg_lo:[0,0,1] neg_hi:[0,0,1]
	v_pk_fma_f32 v[30:31], v[24:25], v[30:31], v[34:35]
	s_nop 0
	v_mov_b32_e32 v37, v31
	global_store_dwordx2 v[32:33], v[36:37], off offset:8
	s_andn2_b64 exec, exec, s[6:7]
	s_cbranch_execnz .LBB6_215
.LBB6_216:                              ;   in Loop: Header=BB6_6 Depth=1
	s_or_b64 exec, exec, s[12:13]
	s_mov_b64 s[12:13], exec
	v_mov_b32_e32 v8, 1
	s_barrier
.LBB6_217:                              ;   in Loop: Header=BB6_6 Depth=1
	s_or_b64 exec, exec, s[8:9]
	s_and_b64 vcc, exec, s[0:1]
	s_cbranch_vccz .LBB6_221
.LBB6_218:                              ;   in Loop: Header=BB6_6 Depth=1
	ds_read_b32 v8, v9 offset:2052
	s_waitcnt lgkmcnt(0)
	v_readfirstlane_b32 s0, v8
	s_cmp_eq_u32 s0, 0
	s_cselect_b64 s[0:1], -1, 0
	s_and_b64 s[6:7], s[10:11], s[0:1]
	s_and_saveexec_b64 s[0:1], s[6:7]
; %bb.219:                              ;   in Loop: Header=BB6_6 Depth=1
	ds_write_b32 v9, v46 offset:2052
; %bb.220:                              ;   in Loop: Header=BB6_6 Depth=1
	s_or_b64 exec, exec, s[0:1]
	v_mov_b32_e32 v8, 1
	s_mov_b64 s[12:13], -1
	v_mov_b32_e32 v26, v2
.LBB6_221:                              ;   in Loop: Header=BB6_6 Depth=1
	s_and_saveexec_b64 s[0:1], s[10:11]
	s_cbranch_execz .LBB6_4
; %bb.222:                              ;   in Loop: Header=BB6_6 Depth=1
	s_xor_b64 s[6:7], s[12:13], -1
	v_lshl_add_u64 v[20:21], v[2:3], 2, s[14:15]
	s_and_saveexec_b64 s[8:9], s[6:7]
	s_xor_b64 s[6:7], exec, s[8:9]
	s_cbranch_execz .LBB6_224
; %bb.223:                              ;   in Loop: Header=BB6_6 Depth=1
	v_not_b32_e32 v22, v26
	v_mov_b32_e32 v23, v22
	global_store_dwordx2 v[20:21], v[22:23], off
                                        ; implicit-def: $vgpr26
                                        ; implicit-def: $vgpr20_vgpr21
.LBB6_224:                              ;   in Loop: Header=BB6_6 Depth=1
	s_andn2_saveexec_b64 s[6:7], s[6:7]
	s_cbranch_execz .LBB6_4
; %bb.225:                              ;   in Loop: Header=BB6_6 Depth=1
	v_add_u32_e32 v3, 1, v26
	global_store_dword v[20:21], v3, off
	s_branch .LBB6_4
.LBB6_226:
	s_or_b64 exec, exec, s[58:59]
	s_and_saveexec_b64 s[0:1], s[10:11]
	s_cbranch_execz .LBB6_228
.LBB6_227:
	v_mov_b32_e32 v3, 0
	s_lshl_b64 s[2:3], s[40:41], 2
	ds_read_b32 v5, v3 offset:2052
	s_add_u32 s4, s20, s2
	s_addc_u32 s5, s21, s3
	s_add_u32 s2, s18, s2
	s_addc_u32 s3, s19, s3
	global_store_dword v3, v2, s[4:5]
	s_waitcnt lgkmcnt(0)
	global_store_dword v3, v5, s[2:3]
.LBB6_228:
	s_or_b64 exec, exec, s[0:1]
	v_cmp_gt_i32_e32 vcc, s28, v2
	s_and_saveexec_b64 s[2:3], vcc
	s_cbranch_execz .LBB6_249
; %bb.229:
	v_ashrrev_i32_e32 v3, 31, v2
	s_add_u32 s0, s34, s42
	v_lshlrev_b64 v[8:9], 3, v[2:3]
	s_addc_u32 s1, s35, s43
	v_lshl_add_u64 v[6:7], s[0:1], 0, v[8:9]
	s_ashr_i32 s1, s29, 31
	s_mov_b32 s0, s29
	s_lshl_b64 s[4:5], s[0:1], 3
	s_ashr_i32 s1, s28, 31
	s_mov_b32 s0, s28
	s_lshl_b64 s[6:7], s[0:1], 3
	s_add_u32 s0, s36, s38
	s_addc_u32 s1, s37, s39
	v_lshl_add_u64 v[8:9], s[0:1], 0, v[8:9]
	v_mov_b32_e32 v5, 0
	v_lshl_add_u64 v[8:9], v[8:9], 0, v[4:5]
	s_ashr_i32 s1, s27, 31
	s_mov_b32 s0, s27
	v_cmp_ne_u32_e32 vcc, 0, v2
	v_lshl_add_u64 v[6:7], v[6:7], 0, 4
	v_lshl_add_u64 v[8:9], s[22:23], 0, v[8:9]
	s_lshl_b64 s[8:9], s[0:1], 3
	s_mov_b64 s[10:11], 0
	s_mov_b64 s[12:13], 0x800
	v_mov_b32_e32 v10, v2
	s_branch .LBB6_231
.LBB6_230:                              ;   in Loop: Header=BB6_231 Depth=1
	s_or_b64 exec, exec, s[16:17]
	v_add_u32_e32 v10, s29, v10
	v_cmp_le_i32_e64 s[0:1], s28, v10
	v_lshl_add_u64 v[6:7], v[6:7], 0, s[4:5]
	s_or_b64 s[10:11], s[0:1], s[10:11]
	v_lshl_add_u64 v[8:9], v[8:9], 0, s[4:5]
	s_andn2_b64 exec, exec, s[10:11]
	s_cbranch_execz .LBB6_249
.LBB6_231:                              ; =>This Loop Header: Depth=1
                                        ;     Child Loop BB6_234 Depth 2
                                        ;       Child Loop BB6_237 Depth 3
                                        ;         Child Loop BB6_239 Depth 4
                                        ;     Child Loop BB6_245 Depth 2
                                        ;       Child Loop BB6_247 Depth 3
	v_sub_u32_e32 v3, s28, v10
	v_min_i32_e32 v11, s29, v3
	v_add_u32_e32 v12, v11, v10
	v_cmp_lt_i32_e64 s[0:1], 0, v11
	s_and_saveexec_b64 s[16:17], s[0:1]
	s_cbranch_execz .LBB6_241
; %bb.232:                              ;   in Loop: Header=BB6_231 Depth=1
	s_mov_b64 s[18:19], 0
	v_mov_b64_e32 v[14:15], v[8:9]
	v_mov_b64_e32 v[16:17], v[6:7]
	v_mov_b32_e32 v18, v10
	s_branch .LBB6_234
.LBB6_233:                              ;   in Loop: Header=BB6_234 Depth=2
	s_or_b64 exec, exec, s[20:21]
	v_add_u32_e32 v18, 1, v18
	v_cmp_ge_i32_e64 s[0:1], v18, v12
	v_lshl_add_u64 v[16:17], v[16:17], 0, 8
	s_or_b64 s[18:19], s[0:1], s[18:19]
	v_lshl_add_u64 v[14:15], v[14:15], 0, 8
	s_andn2_b64 exec, exec, s[18:19]
	s_cbranch_execz .LBB6_241
.LBB6_234:                              ;   Parent Loop BB6_231 Depth=1
                                        ; =>  This Loop Header: Depth=2
                                        ;       Child Loop BB6_237 Depth 3
                                        ;         Child Loop BB6_239 Depth 4
	v_sub_u32_e32 v13, v12, v18
	v_cmp_lt_i32_e64 s[0:1], v0, v13
	s_and_saveexec_b64 s[20:21], s[0:1]
	s_cbranch_execz .LBB6_233
; %bb.235:                              ;   in Loop: Header=BB6_234 Depth=2
	v_ashrrev_i32_e32 v19, 31, v18
	v_mul_lo_u32 v22, v18, s27
	v_lshl_add_u64 v[20:21], v[18:19], 3, s[24:25]
	v_ashrrev_i32_e32 v23, 31, v22
	v_lshl_add_u64 v[20:21], v[22:23], 3, v[20:21]
	s_mov_b64 s[22:23], 0
	v_mov_b64_e32 v[22:23], v[14:15]
	v_mov_b32_e32 v4, v0
	s_branch .LBB6_237
.LBB6_236:                              ;   in Loop: Header=BB6_237 Depth=3
	s_or_b64 exec, exec, s[34:35]
	v_lshl_add_u64 v[26:27], v[4:5], 3, v[20:21]
	global_load_dwordx2 v[28:29], v[26:27], off
	v_mul_f32_e32 v33, 0, v19
	v_xor_b32_e32 v30, 0x80000000, v19
	v_add_u32_e32 v4, 0x100, v4
	v_cmp_ge_i32_e64 s[0:1], v4, v13
	s_or_b64 s[22:23], s[0:1], s[22:23]
	v_lshl_add_u64 v[22:23], v[22:23], 0, s[12:13]
	s_waitcnt vmcnt(0)
	v_mul_f32_e32 v24, 0, v29
	v_mov_b32_e32 v32, v28
	v_mov_b32_e32 v31, v29
	v_pk_add_f32 v[32:33], v[32:33], v[24:25] neg_lo:[0,1] neg_hi:[0,1]
	v_pk_mov_b32 v[24:25], v[24:25], v[28:29] op_sel:[1,0]
	s_nop 0
	v_pk_fma_f32 v[30:31], v[24:25], 0, v[30:31] op_sel_hi:[1,0,1] neg_lo:[1,0,0] neg_hi:[1,0,0]
	v_pk_fma_f32 v[24:25], v[24:25], 0, v[28:29] op_sel_hi:[1,0,1]
	s_nop 0
	v_mov_b32_e32 v31, v25
	v_pk_add_f32 v[24:25], v[30:31], v[32:33]
	global_store_dwordx2 v[26:27], v[24:25], off
	s_andn2_b64 exec, exec, s[22:23]
	s_cbranch_execz .LBB6_233
.LBB6_237:                              ;   Parent Loop BB6_231 Depth=1
                                        ;     Parent Loop BB6_234 Depth=2
                                        ; =>    This Loop Header: Depth=3
                                        ;         Child Loop BB6_239 Depth 4
	v_mov_b32_e32 v25, 0
	v_mov_b32_e32 v19, 0
	s_and_saveexec_b64 s[34:35], vcc
	s_cbranch_execz .LBB6_236
; %bb.238:                              ;   in Loop: Header=BB6_237 Depth=3
	v_mov_b32_e32 v25, 0
	s_mov_b64 s[36:37], 0
	v_mov_b64_e32 v[26:27], v[22:23]
	v_mov_b64_e32 v[28:29], v[16:17]
	v_mov_b32_e32 v24, v2
	v_mov_b32_e32 v19, 0
.LBB6_239:                              ;   Parent Loop BB6_231 Depth=1
                                        ;     Parent Loop BB6_234 Depth=2
                                        ;       Parent Loop BB6_237 Depth=3
                                        ; =>      This Inner Loop Header: Depth=4
	global_load_dwordx2 v[30:31], v[26:27], off
	global_load_dwordx2 v[32:33], v[28:29], off offset:-4
	v_add_u32_e32 v24, -1, v24
	v_cmp_eq_u32_e64 s[0:1], 0, v24
	v_lshl_add_u64 v[28:29], v[28:29], 0, s[6:7]
	v_lshl_add_u64 v[26:27], v[26:27], 0, s[8:9]
	s_or_b64 s[36:37], s[0:1], s[36:37]
	s_waitcnt vmcnt(0)
	v_mul_f32_e32 v34, v33, v31
	v_mul_f32_e32 v31, v32, v31
	v_fma_f32 v32, v32, v30, -v34
	v_fmac_f32_e32 v31, v33, v30
	v_add_f32_e32 v19, v19, v32
	v_add_f32_e32 v25, v25, v31
	s_andn2_b64 exec, exec, s[36:37]
	s_cbranch_execnz .LBB6_239
; %bb.240:                              ;   in Loop: Header=BB6_237 Depth=3
	s_or_b64 exec, exec, s[36:37]
	s_branch .LBB6_236
.LBB6_241:                              ;   in Loop: Header=BB6_231 Depth=1
	s_or_b64 exec, exec, s[16:17]
	v_cmp_gt_i32_e64 s[0:1], s28, v12
	s_and_saveexec_b64 s[16:17], s[0:1]
	s_cbranch_execz .LBB6_230
; %bb.242:                              ;   in Loop: Header=BB6_231 Depth=1
	v_sub_u32_e32 v3, v3, v11
	v_mul_lo_u32 v24, v3, v11
	v_cmp_lt_i32_e64 s[0:1], v0, v24
	s_and_b64 exec, exec, s[0:1]
	s_cbranch_execz .LBB6_230
; %bb.243:                              ;   in Loop: Header=BB6_231 Depth=1
	v_sub_u32_e32 v4, 0, v3
	v_max_i32_e32 v25, v3, v4
	v_cvt_f32_u32_e32 v4, v25
	v_ashrrev_i32_e32 v11, 31, v10
	v_lshl_add_u64 v[14:15], v[10:11], 3, s[30:31]
	v_sub_u32_e32 v11, 0, v25
	v_rcp_iflag_f32_e32 v4, v4
	v_ashrrev_i32_e32 v13, 31, v12
	v_mul_lo_u32 v16, v10, s27
	v_lshl_add_u64 v[12:13], v[12:13], 3, s[24:25]
	v_mul_f32_e32 v4, 0x4f7ffffe, v4
	v_cvt_u32_f32_e32 v4, v4
	v_ashrrev_i32_e32 v17, 31, v16
	v_ashrrev_i32_e32 v26, 31, v3
	v_lshl_add_u64 v[16:17], v[16:17], 3, v[12:13]
	v_mul_lo_u32 v11, v11, v4
	v_mul_hi_u32 v11, v4, v11
	v_add_u32_e32 v4, v4, v11
	s_mov_b64 s[18:19], 0
	v_mov_b32_e32 v11, v0
	s_branch .LBB6_245
.LBB6_244:                              ;   in Loop: Header=BB6_245 Depth=2
	s_or_b64 exec, exec, s[20:21]
	v_mad_u64_u32 v[20:21], s[0:1], v27, s27, v[18:19]
	v_ashrrev_i32_e32 v21, 31, v20
	v_lshl_add_u64 v[20:21], v[20:21], 3, v[16:17]
	global_load_dwordx2 v[22:23], v[20:21], off
	v_xor_b32_e32 v30, 0x80000000, v28
	v_mul_f32_e32 v29, 0, v28
	v_add_u32_e32 v11, 0x100, v11
	v_cmp_ge_i32_e64 s[0:1], v11, v24
	s_or_b64 s[18:19], s[0:1], s[18:19]
	s_waitcnt vmcnt(0)
	v_mul_f32_e32 v18, 0, v23
	v_mov_b32_e32 v28, v22
	v_mov_b32_e32 v31, v23
	v_pk_add_f32 v[28:29], v[28:29], v[18:19] neg_lo:[0,1] neg_hi:[0,1]
	v_pk_mov_b32 v[18:19], v[18:19], v[22:23] op_sel:[1,0]
	s_nop 0
	v_pk_fma_f32 v[30:31], v[18:19], 0, v[30:31] op_sel_hi:[1,0,1] neg_lo:[1,0,0] neg_hi:[1,0,0]
	v_pk_fma_f32 v[18:19], v[18:19], 0, v[22:23] op_sel_hi:[1,0,1]
	s_nop 0
	v_mov_b32_e32 v31, v19
	v_pk_add_f32 v[18:19], v[30:31], v[28:29]
	global_store_dwordx2 v[20:21], v[18:19], off
	s_andn2_b64 exec, exec, s[18:19]
	s_cbranch_execz .LBB6_230
.LBB6_245:                              ;   Parent Loop BB6_231 Depth=1
                                        ; =>  This Loop Header: Depth=2
                                        ;       Child Loop BB6_247 Depth 3
	v_mul_hi_u32 v18, v11, v4
	v_mul_lo_u32 v19, v18, v25
	v_sub_u32_e32 v19, v11, v19
	v_add_u32_e32 v20, 1, v18
	v_cmp_ge_u32_e64 s[0:1], v19, v25
	v_mov_b32_e32 v28, 0
	s_nop 0
	v_cndmask_b32_e64 v18, v18, v20, s[0:1]
	v_sub_u32_e32 v20, v19, v25
	v_cndmask_b32_e64 v19, v19, v20, s[0:1]
	v_add_u32_e32 v20, 1, v18
	v_cmp_ge_u32_e64 s[0:1], v19, v25
	v_mov_b32_e32 v19, 0
	s_nop 0
	v_cndmask_b32_e64 v18, v18, v20, s[0:1]
	v_xor_b32_e32 v18, v18, v26
	v_sub_u32_e32 v27, v18, v26
	v_mul_lo_u32 v18, v27, v3
	v_sub_u32_e32 v18, v11, v18
	s_and_saveexec_b64 s[20:21], vcc
	s_cbranch_execz .LBB6_244
; %bb.246:                              ;   in Loop: Header=BB6_245 Depth=2
	v_mov_b32_e32 v19, 0
	s_mov_b64 s[22:23], 0
	v_mov_b32_e32 v20, v18
	v_mov_b32_e32 v22, v27
	v_mov_b32_e32 v29, v2
	v_mov_b32_e32 v28, 0
.LBB6_247:                              ;   Parent Loop BB6_231 Depth=1
                                        ;     Parent Loop BB6_245 Depth=2
                                        ; =>    This Inner Loop Header: Depth=3
	v_ashrrev_i32_e32 v21, 31, v20
	v_lshl_add_u64 v[30:31], v[20:21], 3, v[12:13]
	v_ashrrev_i32_e32 v23, 31, v22
	v_lshl_add_u64 v[32:33], v[22:23], 3, v[14:15]
	global_load_dwordx2 v[34:35], v[30:31], off
	global_load_dwordx2 v[36:37], v[32:33], off
	v_add_u32_e32 v29, -1, v29
	v_cmp_eq_u32_e64 s[0:1], 0, v29
	v_add_u32_e32 v22, s28, v22
	s_or_b64 s[22:23], s[0:1], s[22:23]
	v_add_u32_e32 v20, s27, v20
	s_waitcnt vmcnt(0)
	v_mul_f32_e32 v21, v37, v35
	v_mul_f32_e32 v23, v36, v35
	v_fma_f32 v21, v36, v34, -v21
	v_fmac_f32_e32 v23, v37, v34
	v_add_f32_e32 v28, v28, v21
	v_add_f32_e32 v19, v19, v23
	s_andn2_b64 exec, exec, s[22:23]
	s_cbranch_execnz .LBB6_247
; %bb.248:                              ;   in Loop: Header=BB6_245 Depth=2
	s_or_b64 exec, exec, s[22:23]
	s_branch .LBB6_244
.LBB6_249:
	s_or_b64 exec, exec, s[2:3]
	v_cmp_lt_i32_e32 vcc, 1, v2
	s_waitcnt lgkmcnt(0)
	s_barrier
	s_and_saveexec_b64 s[0:1], vcc
	s_cbranch_execz .LBB6_257
; %bb.250:
	s_lshl_b32 s6, s27, 8
	s_mov_b64 s[2:3], 0
	v_mov_b32_e32 v5, 0
	s_branch .LBB6_253
.LBB6_251:                              ;   in Loop: Header=BB6_253 Depth=1
	s_barrier
.LBB6_252:                              ;   in Loop: Header=BB6_253 Depth=1
	s_or_b64 exec, exec, s[0:1]
	v_cmp_gt_u32_e32 vcc, 2, v8
	s_or_b64 s[2:3], vcc, s[2:3]
	v_mov_b32_e32 v2, v8
	s_andn2_b64 exec, exec, s[2:3]
	s_cbranch_execz .LBB6_257
.LBB6_253:                              ; =>This Loop Header: Depth=1
                                        ;     Child Loop BB6_256 Depth 2
	v_add_u32_e32 v4, -1, v2
	v_lshl_add_u64 v[6:7], v[4:5], 2, s[14:15]
	global_load_dword v3, v[6:7], off
	v_add_u32_e32 v6, -2, v2
	s_waitcnt vmcnt(0)
	v_not_b32_e32 v7, v3
	v_add_u32_e32 v8, -1, v3
	v_cmp_gt_i32_e32 vcc, 0, v3
	s_nop 1
	v_cndmask_b32_e32 v9, v8, v7, vcc
	v_cndmask_b32_e32 v8, v4, v6, vcc
	v_cmp_ne_u32_e32 vcc, v9, v4
	v_cmp_ne_u32_e64 s[0:1], 0, v8
	s_and_b64 s[4:5], vcc, s[0:1]
	s_and_saveexec_b64 s[0:1], s[4:5]
	s_cbranch_execz .LBB6_252
; %bb.254:                              ;   in Loop: Header=BB6_253 Depth=1
	v_cmp_lt_i32_e32 vcc, v0, v8
	s_and_b64 exec, exec, vcc
	s_cbranch_execz .LBB6_251
; %bb.255:                              ;   in Loop: Header=BB6_253 Depth=1
	v_ashrrev_i32_e32 v3, 31, v2
	s_mov_b64 s[4:5], 0
	v_mov_b32_e32 v6, v1
	v_mov_b32_e32 v4, v0
.LBB6_256:                              ;   Parent Loop BB6_253 Depth=1
                                        ; =>  This Inner Loop Header: Depth=2
	v_ashrrev_i32_e32 v7, 31, v6
	v_add_u32_e32 v10, v9, v6
	v_lshl_add_u64 v[12:13], v[6:7], 0, v[2:3]
	v_ashrrev_i32_e32 v11, 31, v10
	v_lshl_add_u64 v[12:13], v[12:13], 3, s[24:25]
	v_lshl_add_u64 v[10:11], v[10:11], 3, s[24:25]
	global_load_dwordx2 v[14:15], v[12:13], off offset:-8
	global_load_dwordx2 v[16:17], v[10:11], off
	v_add_u32_e32 v4, 0x100, v4
	v_cmp_ge_i32_e32 vcc, v4, v8
	v_add_u32_e32 v6, s6, v6
	s_or_b64 s[4:5], vcc, s[4:5]
	s_waitcnt vmcnt(1)
	global_store_dwordx2 v[10:11], v[14:15], off
	s_waitcnt vmcnt(1)
	global_store_dwordx2 v[12:13], v[16:17], off offset:-8
	s_andn2_b64 exec, exec, s[4:5]
	s_cbranch_execnz .LBB6_256
	s_branch .LBB6_251
.LBB6_257:
	s_endpgm
.LBB6_258:
	v_mov_b32_e32 v2, 0
	s_and_saveexec_b64 s[0:1], s[10:11]
	s_cbranch_execnz .LBB6_227
	s_branch .LBB6_228
	.section	.rodata,"a",@progbits
	.p2align	6, 0x0
	.amdhsa_kernel _ZN9rocsolver6v33100L18lasyf_kernel_lowerI19rocblas_complex_numIfEPS3_EEviiPiT0_iilS5_lS5_PT_
		.amdhsa_group_segment_fixed_size 2068
		.amdhsa_private_segment_fixed_size 0
		.amdhsa_kernarg_size 72
		.amdhsa_user_sgpr_count 2
		.amdhsa_user_sgpr_dispatch_ptr 0
		.amdhsa_user_sgpr_queue_ptr 0
		.amdhsa_user_sgpr_kernarg_segment_ptr 1
		.amdhsa_user_sgpr_dispatch_id 0
		.amdhsa_user_sgpr_kernarg_preload_length 0
		.amdhsa_user_sgpr_kernarg_preload_offset 0
		.amdhsa_user_sgpr_private_segment_size 0
		.amdhsa_uses_dynamic_stack 0
		.amdhsa_enable_private_segment 0
		.amdhsa_system_sgpr_workgroup_id_x 1
		.amdhsa_system_sgpr_workgroup_id_y 1
		.amdhsa_system_sgpr_workgroup_id_z 0
		.amdhsa_system_sgpr_workgroup_info 0
		.amdhsa_system_vgpr_workitem_id 0
		.amdhsa_next_free_vgpr 58
		.amdhsa_next_free_sgpr 77
		.amdhsa_accum_offset 60
		.amdhsa_reserve_vcc 1
		.amdhsa_float_round_mode_32 0
		.amdhsa_float_round_mode_16_64 0
		.amdhsa_float_denorm_mode_32 3
		.amdhsa_float_denorm_mode_16_64 3
		.amdhsa_dx10_clamp 1
		.amdhsa_ieee_mode 1
		.amdhsa_fp16_overflow 0
		.amdhsa_tg_split 0
		.amdhsa_exception_fp_ieee_invalid_op 0
		.amdhsa_exception_fp_denorm_src 0
		.amdhsa_exception_fp_ieee_div_zero 0
		.amdhsa_exception_fp_ieee_overflow 0
		.amdhsa_exception_fp_ieee_underflow 0
		.amdhsa_exception_fp_ieee_inexact 0
		.amdhsa_exception_int_div_zero 0
	.end_amdhsa_kernel
	.section	.text._ZN9rocsolver6v33100L18lasyf_kernel_lowerI19rocblas_complex_numIfEPS3_EEviiPiT0_iilS5_lS5_PT_,"axG",@progbits,_ZN9rocsolver6v33100L18lasyf_kernel_lowerI19rocblas_complex_numIfEPS3_EEviiPiT0_iilS5_lS5_PT_,comdat
.Lfunc_end6:
	.size	_ZN9rocsolver6v33100L18lasyf_kernel_lowerI19rocblas_complex_numIfEPS3_EEviiPiT0_iilS5_lS5_PT_, .Lfunc_end6-_ZN9rocsolver6v33100L18lasyf_kernel_lowerI19rocblas_complex_numIfEPS3_EEviiPiT0_iilS5_lS5_PT_
                                        ; -- End function
	.set _ZN9rocsolver6v33100L18lasyf_kernel_lowerI19rocblas_complex_numIfEPS3_EEviiPiT0_iilS5_lS5_PT_.num_vgpr, 58
	.set _ZN9rocsolver6v33100L18lasyf_kernel_lowerI19rocblas_complex_numIfEPS3_EEviiPiT0_iilS5_lS5_PT_.num_agpr, 0
	.set _ZN9rocsolver6v33100L18lasyf_kernel_lowerI19rocblas_complex_numIfEPS3_EEviiPiT0_iilS5_lS5_PT_.numbered_sgpr, 77
	.set _ZN9rocsolver6v33100L18lasyf_kernel_lowerI19rocblas_complex_numIfEPS3_EEviiPiT0_iilS5_lS5_PT_.num_named_barrier, 0
	.set _ZN9rocsolver6v33100L18lasyf_kernel_lowerI19rocblas_complex_numIfEPS3_EEviiPiT0_iilS5_lS5_PT_.private_seg_size, 0
	.set _ZN9rocsolver6v33100L18lasyf_kernel_lowerI19rocblas_complex_numIfEPS3_EEviiPiT0_iilS5_lS5_PT_.uses_vcc, 1
	.set _ZN9rocsolver6v33100L18lasyf_kernel_lowerI19rocblas_complex_numIfEPS3_EEviiPiT0_iilS5_lS5_PT_.uses_flat_scratch, 0
	.set _ZN9rocsolver6v33100L18lasyf_kernel_lowerI19rocblas_complex_numIfEPS3_EEviiPiT0_iilS5_lS5_PT_.has_dyn_sized_stack, 0
	.set _ZN9rocsolver6v33100L18lasyf_kernel_lowerI19rocblas_complex_numIfEPS3_EEviiPiT0_iilS5_lS5_PT_.has_recursion, 0
	.set _ZN9rocsolver6v33100L18lasyf_kernel_lowerI19rocblas_complex_numIfEPS3_EEviiPiT0_iilS5_lS5_PT_.has_indirect_call, 0
	.section	.AMDGPU.csdata,"",@progbits
; Kernel info:
; codeLenInByte = 10820
; TotalNumSgprs: 83
; NumVgprs: 58
; NumAgprs: 0
; TotalNumVgprs: 58
; ScratchSize: 0
; MemoryBound: 0
; FloatMode: 240
; IeeeMode: 1
; LDSByteSize: 2068 bytes/workgroup (compile time only)
; SGPRBlocks: 10
; VGPRBlocks: 7
; NumSGPRsForWavesPerEU: 83
; NumVGPRsForWavesPerEU: 58
; AccumOffset: 60
; Occupancy: 8
; WaveLimiterHint : 1
; COMPUTE_PGM_RSRC2:SCRATCH_EN: 0
; COMPUTE_PGM_RSRC2:USER_SGPR: 2
; COMPUTE_PGM_RSRC2:TRAP_HANDLER: 0
; COMPUTE_PGM_RSRC2:TGID_X_EN: 1
; COMPUTE_PGM_RSRC2:TGID_Y_EN: 1
; COMPUTE_PGM_RSRC2:TGID_Z_EN: 0
; COMPUTE_PGM_RSRC2:TIDIG_COMP_CNT: 0
; COMPUTE_PGM_RSRC3_GFX90A:ACCUM_OFFSET: 14
; COMPUTE_PGM_RSRC3_GFX90A:TG_SPLIT: 0
	.section	.text._ZN9rocsolver6v33100L18lasyf_kernel_upperI19rocblas_complex_numIdEPS3_EEviiPiT0_iilS5_lS5_PT_,"axG",@progbits,_ZN9rocsolver6v33100L18lasyf_kernel_upperI19rocblas_complex_numIdEPS3_EEviiPiT0_iilS5_lS5_PT_,comdat
	.globl	_ZN9rocsolver6v33100L18lasyf_kernel_upperI19rocblas_complex_numIdEPS3_EEviiPiT0_iilS5_lS5_PT_ ; -- Begin function _ZN9rocsolver6v33100L18lasyf_kernel_upperI19rocblas_complex_numIdEPS3_EEviiPiT0_iilS5_lS5_PT_
	.p2align	8
	.type	_ZN9rocsolver6v33100L18lasyf_kernel_upperI19rocblas_complex_numIdEPS3_EEviiPiT0_iilS5_lS5_PT_,@function
_ZN9rocsolver6v33100L18lasyf_kernel_upperI19rocblas_complex_numIdEPS3_EEviiPiT0_iilS5_lS5_PT_: ; @_ZN9rocsolver6v33100L18lasyf_kernel_upperI19rocblas_complex_numIdEPS3_EEviiPiT0_iilS5_lS5_PT_
; %bb.0:
	v_and_b32_e32 v28, 0x3ff, v0
	s_mov_b32 s40, s5
	v_cmp_eq_u32_e64 s[10:11], 0, v28
	s_and_saveexec_b64 s[4:5], s[10:11]
; %bb.1:
	v_mov_b32_e32 v1, 0
	ds_write_b32 v1, v1 offset:3100
; %bb.2:
	s_or_b64 exec, exec, s[4:5]
	s_load_dwordx2 s[4:5], s[0:1], 0x4
	s_load_dwordx2 s[24:25], s[2:3], 0x0
	s_load_dwordx4 s[20:23], s[2:3], 0x8
	s_load_dwordx2 s[26:27], s[2:3], 0x18
	s_load_dwordx8 s[12:19], s[2:3], 0x20
	s_load_dwordx2 s[30:31], s[2:3], 0x40
	s_ashr_i32 s41, s40, 31
	s_waitcnt lgkmcnt(0)
	s_lshr_b32 s0, s4, 16
	s_mul_i32 s0, s0, s5
	s_mul_hi_u32 s2, s12, s40
	s_mul_i32 s3, s12, s41
	s_add_i32 s2, s2, s3
	s_mul_i32 s3, s13, s40
	s_add_i32 s3, s2, s3
	s_mul_i32 s2, s12, s40
	s_ashr_i32 s1, s26, 31
	s_lshl_b64 s[36:37], s[2:3], 4
	v_mul_lo_u32 v1, s0, v28
	s_mov_b32 s0, s26
	s_add_u32 s2, s22, s36
	s_addc_u32 s3, s23, s37
	s_lshl_b64 s[38:39], s[0:1], 4
	s_mul_i32 s0, s24, s40
	s_add_u32 s28, s2, s38
	s_mul_i32 s34, s0, s25
	s_mul_hi_u32 s0, s16, s40
	s_mul_i32 s1, s16, s41
	s_addc_u32 s29, s3, s39
	s_add_i32 s0, s0, s1
	s_mul_i32 s1, s17, s40
	s_add_i32 s1, s0, s1
	s_mul_i32 s0, s16, s40
	s_ashr_i32 s35, s34, 31
	s_lshl_b64 s[0:1], s[0:1], 2
	v_bfe_u32 v2, v0, 10, 10
	s_add_u32 s26, s14, s0
	v_mul_u32_u24_e32 v2, s5, v2
	v_bfe_u32 v0, v0, 20, 10
	s_addc_u32 s33, s15, s1
	s_add_i32 s70, s24, -1
	v_add3_u32 v30, v1, v2, v0
	s_cmp_lt_i32 s70, 0
	v_lshlrev_b32_e32 v8, 4, v28
	v_add_u32_e32 v29, 1, v28
	s_mov_b32 s6, s25
	s_mov_b32 s16, s70
	s_cbranch_scc1 .LBB7_231
; %bb.3:
	s_sub_i32 s71, s25, s24
	s_lshl_b64 s[0:1], s[34:35], 4
	s_add_u32 s42, s30, s0
	s_addc_u32 s43, s31, s1
	s_add_i32 s79, s25, -1
	s_sub_i32 s72, s24, s25
	s_cmp_eq_u32 s25, s24
	s_cselect_b64 s[0:1], -1, 0
	s_add_i32 s73, s27, 1
	s_lshl_b32 s74, s24, 1
	s_add_u32 s6, s36, s38
	s_addc_u32 s7, s37, s39
	s_add_u32 s44, s22, s6
	v_lshlrev_b32_e32 v0, 4, v30
	s_addc_u32 s45, s23, s7
	v_mov_b32_e32 v11, 0
	s_ashr_i32 s7, s27, 31
	s_mov_b32 s6, s27
	v_add_u32_e32 v31, 0x1c20, v0
	v_add_u32_e32 v32, 0xc20, v0
	v_mov_b32_e32 v0, 0x800
	v_mov_b32_e32 v9, v11
	s_lshl_b64 s[46:47], s[6:7], 4
	v_lshl_add_u32 v34, v28, 2, v0
	v_lshl_add_u64 v[0:1], s[44:45], 0, v[8:9]
	s_add_u32 s48, s42, 8
	v_lshl_add_u64 v[12:13], v[0:1], 0, 8
	s_addc_u32 s49, s43, 0
	s_ashr_i32 s7, s24, 31
	s_mov_b32 s6, s24
	v_lshl_add_u64 v[0:1], s[42:43], 0, v[8:9]
	s_lshl_b64 s[50:51], s[6:7], 4
	v_lshl_add_u64 v[14:15], v[0:1], 0, 8
	s_lshl_b32 s75, s27, 8
	v_lshl_add_u64 v[16:17], v[0:1], 0, 16
	v_add_u32_e32 v0, s25, v28
	s_lshl_b32 s76, s24, 8
	s_movk_i32 s2, 0x80
	v_subrev_u32_e32 v0, s24, v0
	s_add_u32 s52, s44, 8
	s_mov_b32 s56, 0
	s_mov_b32 s58, 0x66afed07
	v_lshlrev_b32_e32 v33, 3, v28
	v_cmp_gt_u32_e64 s[2:3], s2, v28
	v_cmp_gt_u32_e64 s[4:5], 64, v28
	v_add_u32_e32 v9, 1, v0
	s_addc_u32 s53, s45, 0
	s_mov_b64 s[54:55], 0x1000
	s_mov_b32 s77, 0
	s_brev_b32 s57, 1
	s_brev_b32 s78, -2
	s_mov_b32 s59, 0x3fe47e0f
	s_xor_b64 s[60:61], s[0:1], -1
	s_mov_b32 s16, s70
	s_branch .LBB7_5
.LBB7_4:                                ;   in Loop: Header=BB7_5 Depth=1
	s_cbranch_execnz .LBB7_230
.LBB7_5:                                ; =>This Loop Header: Depth=1
                                        ;     Child Loop BB7_8 Depth 2
                                        ;     Child Loop BB7_16 Depth 2
                                        ;       Child Loop BB7_18 Depth 3
                                        ;     Child Loop BB7_22 Depth 2
                                        ;     Child Loop BB7_65 Depth 2
	;; [unrolled: 1-line block ×4, first 2 shown]
                                        ;       Child Loop BB7_78 Depth 3
                                        ;     Child Loop BB7_83 Depth 2
                                        ;     Child Loop BB7_125 Depth 2
	;; [unrolled: 1-line block ×9, first 2 shown]
	s_cmp_le_i32 s16, s72
	s_cselect_b64 s[0:1], -1, 0
	s_and_b64 s[0:1], s[60:61], s[0:1]
	s_and_b64 vcc, exec, s[0:1]
	s_cbranch_vccnz .LBB7_4
; %bb.6:                                ;   in Loop: Header=BB7_5 Depth=1
	v_cmp_ge_i32_e64 s[8:9], s16, v28
	s_and_saveexec_b64 s[0:1], s[8:9]
	s_cbranch_execz .LBB7_9
; %bb.7:                                ;   in Loop: Header=BB7_5 Depth=1
	s_mul_i32 s6, s16, s27
	s_mul_i32 s7, s79, s24
	v_add_u32_e32 v0, s7, v28
	v_add_u32_e32 v2, s6, v28
	v_ashrrev_i32_e32 v1, 31, v0
	v_ashrrev_i32_e32 v3, 31, v2
	v_lshl_add_u64 v[0:1], v[0:1], 4, s[42:43]
	v_lshl_add_u64 v[2:3], v[2:3], 4, s[44:45]
	s_mov_b64 s[6:7], 0
	v_mov_b32_e32 v4, v28
.LBB7_8:                                ;   Parent Loop BB7_5 Depth=1
                                        ; =>  This Inner Loop Header: Depth=2
	global_load_dwordx4 v[18:21], v[2:3], off
	v_add_u32_e32 v4, 0x100, v4
	v_cmp_lt_i32_e32 vcc, s16, v4
	v_lshl_add_u64 v[2:3], v[2:3], 0, s[54:55]
	s_or_b64 s[6:7], vcc, s[6:7]
	s_waitcnt vmcnt(0)
	global_store_dwordx4 v[0:1], v[18:21], off
	v_lshl_add_u64 v[0:1], v[0:1], 0, s[54:55]
	s_andn2_b64 exec, exec, s[6:7]
	s_cbranch_execnz .LBB7_8
.LBB7_9:                                ;   in Loop: Header=BB7_5 Depth=1
	s_or_b64 exec, exec, s[0:1]
	s_cmp_ge_i32 s16, s70
	s_cselect_b64 s[64:65], -1, 0
	s_cmp_lt_i32 s16, s70
	s_mov_b64 s[0:1], -1
	s_barrier
                                        ; implicit-def: $sgpr62
	s_cbranch_scc1 .LBB7_11
; %bb.10:                               ;   in Loop: Header=BB7_5 Depth=1
	s_mul_i32 s62, s79, s24
	s_ashr_i32 s63, s62, 31
	s_mov_b64 s[0:1], 0
.LBB7_11:                               ;   in Loop: Header=BB7_5 Depth=1
	s_andn2_b64 vcc, exec, s[0:1]
	s_cbranch_vccnz .LBB7_20
; %bb.12:                               ;   in Loop: Header=BB7_5 Depth=1
	s_mul_i32 s62, s79, s24
	s_ashr_i32 s63, s62, 31
	s_and_saveexec_b64 s[0:1], s[8:9]
	s_cbranch_execz .LBB7_19
; %bb.13:                               ;   in Loop: Header=BB7_5 Depth=1
	s_add_i32 s6, s16, 1
	s_mul_i32 s14, s6, s27
	s_add_i32 s6, s79, 1
	s_not_b32 s7, s16
	s_mul_i32 s66, s6, s24
	s_add_i32 s80, s24, s7
	s_ashr_i32 s15, s14, 31
	s_ashr_i32 s67, s66, 31
	s_lshl_b64 s[6:7], s[62:63], 4
	s_add_u32 s6, s42, s6
	s_addc_u32 s7, s43, s7
	s_mov_b32 s17, s77
	s_cmp_gt_i32 s80, 0
	s_cselect_b64 s[12:13], -1, 0
	v_lshl_add_u64 v[0:1], s[14:15], 4, v[12:13]
	s_lshl_b64 s[14:15], s[66:67], 4
	s_lshl_b64 s[66:67], s[16:17], 4
	s_add_u32 s14, s14, s66
	s_addc_u32 s15, s15, s67
	s_add_u32 s14, s48, s14
	s_addc_u32 s15, s49, s15
	s_mov_b64 s[66:67], 0
	v_mov_b32_e32 v10, v28
	s_branch .LBB7_16
.LBB7_14:                               ;   in Loop: Header=BB7_16 Depth=2
	v_mov_b64_e32 v[4:5], 0
.LBB7_15:                               ;   in Loop: Header=BB7_16 Depth=2
	v_lshl_add_u64 v[6:7], v[10:11], 4, s[6:7]
	global_load_dwordx4 v[18:21], v[6:7], off
	v_fma_f64 v[22:23], v[2:3], s[56:57], -v[4:5]
	v_fma_f64 v[4:5], v[4:5], 0, -v[2:3]
	v_add_u32_e32 v10, 0x100, v10
	v_cmp_lt_i32_e32 vcc, s16, v10
	s_or_b64 s[66:67], vcc, s[66:67]
	v_lshl_add_u64 v[0:1], v[0:1], 0, s[54:55]
	s_waitcnt vmcnt(0)
	v_mov_b64_e32 v[2:3], v[18:19]
	v_fmac_f64_e32 v[2:3], 0x80000000, v[20:21]
	v_fmac_f64_e32 v[20:21], 0, v[18:19]
	v_add_f64 v[2:3], v[22:23], v[2:3]
	v_add_f64 v[4:5], v[4:5], v[20:21]
	global_store_dwordx4 v[6:7], v[2:5], off
	s_andn2_b64 exec, exec, s[66:67]
	s_cbranch_execz .LBB7_19
.LBB7_16:                               ;   Parent Loop BB7_5 Depth=1
                                        ; =>  This Loop Header: Depth=2
                                        ;       Child Loop BB7_18 Depth 3
	v_mov_b64_e32 v[2:3], 0
	s_andn2_b64 vcc, exec, s[12:13]
	s_cbranch_vccnz .LBB7_14
; %bb.17:                               ;   in Loop: Header=BB7_16 Depth=2
	s_mov_b64 s[68:69], s[14:15]
	v_mov_b64_e32 v[6:7], v[0:1]
	s_mov_b32 s17, s80
	v_mov_b64_e32 v[4:5], 0
.LBB7_18:                               ;   Parent Loop BB7_5 Depth=1
                                        ;     Parent Loop BB7_16 Depth=2
                                        ; =>    This Inner Loop Header: Depth=3
	global_load_dwordx4 v[18:21], v11, s[68:69] offset:-8
	global_load_dwordx4 v[22:25], v[6:7], off offset:-8
	s_add_i32 s17, s17, -1
	s_add_u32 s68, s68, s50
	s_addc_u32 s69, s69, s51
	v_lshl_add_u64 v[6:7], v[6:7], 0, s[46:47]
	s_cmp_eq_u32 s17, 0
	s_waitcnt vmcnt(0)
	v_mul_f64 v[26:27], v[20:21], v[24:25]
	v_mul_f64 v[24:25], v[18:19], v[24:25]
	v_fma_f64 v[18:19], v[18:19], v[22:23], -v[26:27]
	v_fmac_f64_e32 v[24:25], v[20:21], v[22:23]
	v_add_f64 v[4:5], v[4:5], v[18:19]
	v_add_f64 v[2:3], v[2:3], v[24:25]
	s_cbranch_scc0 .LBB7_18
	s_branch .LBB7_15
.LBB7_19:                               ;   in Loop: Header=BB7_5 Depth=1
	s_or_b64 exec, exec, s[0:1]
	s_barrier
.LBB7_20:                               ;   in Loop: Header=BB7_5 Depth=1
	v_cmp_gt_i32_e64 s[6:7], s16, v28
	v_bfrev_b32_e32 v4, -2
	v_mov_b64_e32 v[0:1], 0
	s_and_saveexec_b64 s[66:67], s[6:7]
	s_cbranch_execz .LBB7_24
; %bb.21:                               ;   in Loop: Header=BB7_5 Depth=1
	v_lshl_add_u64 v[2:3], s[62:63], 4, v[14:15]
	v_bfrev_b32_e32 v4, -2
	v_mov_b64_e32 v[0:1], 0
	s_mov_b64 s[68:69], 0
	v_mov_b32_e32 v5, v28
.LBB7_22:                               ;   Parent Loop BB7_5 Depth=1
                                        ; =>  This Inner Loop Header: Depth=2
	global_load_dwordx4 v[18:21], v[2:3], off offset:-8
	v_cmp_eq_u32_e32 vcc, s78, v4
	v_add_u32_e32 v10, 1, v5
	v_add_u32_e32 v5, 0x100, v5
	v_cmp_le_i32_e64 s[0:1], s16, v5
	v_lshl_add_u64 v[2:3], v[2:3], 0, s[54:55]
	s_waitcnt vmcnt(0)
	v_xor_b32_e32 v6, 0x80000000, v19
	v_xor_b32_e32 v7, 0x80000000, v21
	v_cmp_gt_f64_e64 s[12:13], 0, v[20:21]
	v_cmp_gt_f64_e64 s[14:15], 0, v[18:19]
	s_nop 0
	v_cndmask_b32_e64 v21, v21, v7, s[12:13]
	v_cndmask_b32_e64 v19, v19, v6, s[14:15]
	v_add_f64 v[6:7], v[18:19], v[20:21]
	v_cmp_lt_f64_e64 s[12:13], v[0:1], v[6:7]
	s_or_b64 vcc, s[12:13], vcc
	v_cndmask_b32_e32 v4, v4, v10, vcc
	v_cndmask_b32_e32 v1, v1, v7, vcc
	s_or_b64 s[68:69], s[0:1], s[68:69]
	v_cndmask_b32_e32 v0, v0, v6, vcc
	s_andn2_b64 exec, exec, s[68:69]
	s_cbranch_execnz .LBB7_22
; %bb.23:                               ;   in Loop: Header=BB7_5 Depth=1
	s_or_b64 exec, exec, s[68:69]
.LBB7_24:                               ;   in Loop: Header=BB7_5 Depth=1
	s_or_b64 exec, exec, s[66:67]
	s_cmp_lt_i32 s16, 2
	ds_write_b64 v33, v[0:1]
	ds_write_b32 v34, v4
	s_waitcnt lgkmcnt(0)
	s_barrier
	s_cbranch_scc1 .LBB7_59
; %bb.25:                               ;   in Loop: Header=BB7_5 Depth=1
	s_and_saveexec_b64 s[12:13], s[2:3]
	s_cbranch_execz .LBB7_31
; %bb.26:                               ;   in Loop: Header=BB7_5 Depth=1
	ds_read_b64 v[2:3], v33 offset:1024
	ds_read_b32 v5, v34 offset:512
	s_waitcnt lgkmcnt(1)
	v_cmp_lt_f64_e64 s[14:15], v[0:1], v[2:3]
	v_cmp_nlt_f64_e32 vcc, v[0:1], v[2:3]
	s_and_saveexec_b64 s[66:67], vcc
	s_cbranch_execz .LBB7_28
; %bb.27:                               ;   in Loop: Header=BB7_5 Depth=1
	v_cmp_eq_f64_e32 vcc, v[0:1], v[2:3]
	s_waitcnt lgkmcnt(0)
	v_cmp_gt_i32_e64 s[0:1], v4, v5
	s_and_b64 s[0:1], vcc, s[0:1]
	s_andn2_b64 s[14:15], s[14:15], exec
	s_and_b64 s[0:1], s[0:1], exec
	s_or_b64 s[14:15], s[14:15], s[0:1]
.LBB7_28:                               ;   in Loop: Header=BB7_5 Depth=1
	s_or_b64 exec, exec, s[66:67]
	s_and_saveexec_b64 s[0:1], s[14:15]
	s_cbranch_execz .LBB7_30
; %bb.29:                               ;   in Loop: Header=BB7_5 Depth=1
	v_mov_b64_e32 v[0:1], v[2:3]
	s_waitcnt lgkmcnt(0)
	v_mov_b32_e32 v4, v5
	ds_write_b64 v33, v[2:3]
	ds_write_b32 v34, v5
.LBB7_30:                               ;   in Loop: Header=BB7_5 Depth=1
	s_or_b64 exec, exec, s[0:1]
.LBB7_31:                               ;   in Loop: Header=BB7_5 Depth=1
	s_or_b64 exec, exec, s[12:13]
	s_waitcnt lgkmcnt(0)
	s_barrier
	s_and_saveexec_b64 s[14:15], s[4:5]
	s_cbranch_execz .LBB7_58
; %bb.32:                               ;   in Loop: Header=BB7_5 Depth=1
	ds_read_b64 v[2:3], v33 offset:512
	ds_read_b32 v5, v34 offset:256
	s_waitcnt lgkmcnt(1)
	v_cmp_lt_f64_e64 s[12:13], v[0:1], v[2:3]
	v_cmp_nlt_f64_e32 vcc, v[0:1], v[2:3]
	s_and_saveexec_b64 s[66:67], vcc
	s_cbranch_execz .LBB7_34
; %bb.33:                               ;   in Loop: Header=BB7_5 Depth=1
	v_cmp_eq_f64_e32 vcc, v[0:1], v[2:3]
	s_waitcnt lgkmcnt(0)
	v_cmp_gt_i32_e64 s[0:1], v4, v5
	s_and_b64 s[0:1], vcc, s[0:1]
	s_andn2_b64 s[12:13], s[12:13], exec
	s_and_b64 s[0:1], s[0:1], exec
	s_or_b64 s[12:13], s[12:13], s[0:1]
.LBB7_34:                               ;   in Loop: Header=BB7_5 Depth=1
	s_or_b64 exec, exec, s[66:67]
	s_and_saveexec_b64 s[0:1], s[12:13]
	s_cbranch_execz .LBB7_36
; %bb.35:                               ;   in Loop: Header=BB7_5 Depth=1
	s_waitcnt lgkmcnt(0)
	v_mov_b32_e32 v4, v5
	v_mov_b64_e32 v[0:1], v[2:3]
	ds_write_b64 v33, v[2:3]
	ds_write_b32 v34, v5
.LBB7_36:                               ;   in Loop: Header=BB7_5 Depth=1
	s_or_b64 exec, exec, s[0:1]
	ds_read_b64 v[2:3], v33 offset:256
	s_waitcnt lgkmcnt(1)
	ds_read_b32 v5, v34 offset:128
	s_waitcnt lgkmcnt(1)
	v_cmp_lt_f64_e64 s[12:13], v[0:1], v[2:3]
	v_cmp_nlt_f64_e32 vcc, v[0:1], v[2:3]
	s_and_saveexec_b64 s[66:67], vcc
	s_cbranch_execz .LBB7_38
; %bb.37:                               ;   in Loop: Header=BB7_5 Depth=1
	v_cmp_eq_f64_e32 vcc, v[0:1], v[2:3]
	s_waitcnt lgkmcnt(0)
	v_cmp_gt_i32_e64 s[0:1], v4, v5
	s_and_b64 s[0:1], vcc, s[0:1]
	s_andn2_b64 s[12:13], s[12:13], exec
	s_and_b64 s[0:1], s[0:1], exec
	s_or_b64 s[12:13], s[12:13], s[0:1]
.LBB7_38:                               ;   in Loop: Header=BB7_5 Depth=1
	s_or_b64 exec, exec, s[66:67]
	s_and_saveexec_b64 s[0:1], s[12:13]
	s_cbranch_execz .LBB7_40
; %bb.39:                               ;   in Loop: Header=BB7_5 Depth=1
	s_waitcnt lgkmcnt(0)
	v_mov_b32_e32 v4, v5
	v_mov_b64_e32 v[0:1], v[2:3]
	ds_write_b64 v33, v[2:3]
	ds_write_b32 v34, v5
.LBB7_40:                               ;   in Loop: Header=BB7_5 Depth=1
	s_or_b64 exec, exec, s[0:1]
	ds_read_b64 v[2:3], v33 offset:128
	s_waitcnt lgkmcnt(1)
	;; [unrolled: 28-line block ×6, first 2 shown]
	ds_read_b32 v5, v34 offset:4
	s_waitcnt lgkmcnt(1)
	v_cmp_eq_f64_e64 s[0:1], v[0:1], v[2:3]
	s_waitcnt lgkmcnt(0)
	v_cmp_gt_i32_e64 s[12:13], v4, v5
	v_cmp_lt_f64_e32 vcc, v[0:1], v[2:3]
	s_and_b64 s[0:1], s[0:1], s[12:13]
	s_or_b64 s[0:1], vcc, s[0:1]
	s_and_b64 exec, exec, s[0:1]
	s_cbranch_execz .LBB7_58
; %bb.57:                               ;   in Loop: Header=BB7_5 Depth=1
	ds_write_b64 v33, v[2:3]
	ds_write_b32 v34, v5
.LBB7_58:                               ;   in Loop: Header=BB7_5 Depth=1
	s_or_b64 exec, exec, s[14:15]
.LBB7_59:                               ;   in Loop: Header=BB7_5 Depth=1
	s_and_saveexec_b64 s[0:1], s[10:11]
	s_cbranch_execz .LBB7_61
; %bb.60:                               ;   in Loop: Header=BB7_5 Depth=1
	s_add_i32 s12, s62, s16
	s_ashr_i32 s13, s12, 31
	s_lshl_b64 s[12:13], s[12:13], 4
	s_add_u32 s12, s42, s12
	s_addc_u32 s13, s43, s13
	global_load_dwordx4 v[0:3], v11, s[12:13]
	ds_read_b32 v6, v11 offset:2048
	ds_read_b64 v[4:5], v11
	s_waitcnt lgkmcnt(1)
	v_add_u32_e32 v6, -1, v6
	ds_write_b32 v11, v6 offset:3096
	s_waitcnt vmcnt(0)
	v_xor_b32_e32 v6, 0x80000000, v1
	v_cmp_gt_f64_e32 vcc, 0, v[0:1]
	v_xor_b32_e32 v7, 0x80000000, v3
	s_nop 0
	v_cndmask_b32_e32 v1, v1, v6, vcc
	v_cmp_gt_f64_e32 vcc, 0, v[2:3]
	s_nop 1
	v_cndmask_b32_e32 v3, v3, v7, vcc
	v_add_f64 v[2:3], v[0:1], v[2:3]
	s_waitcnt lgkmcnt(1)
	ds_write_b128 v11, v[2:5] offset:3072
.LBB7_61:                               ;   in Loop: Header=BB7_5 Depth=1
	s_or_b64 exec, exec, s[0:1]
	s_waitcnt lgkmcnt(0)
	s_barrier
	ds_read_b128 v[0:3], v11 offset:3072
	s_waitcnt lgkmcnt(0)
	v_cmp_lt_f64_e32 vcc, v[0:1], v[2:3]
	s_nop 1
	v_cndmask_b32_e32 v5, v1, v3, vcc
	v_cndmask_b32_e32 v4, v0, v2, vcc
	v_cmp_neq_f64_e32 vcc, 0, v[4:5]
	s_cbranch_vccz .LBB7_79
; %bb.62:                               ;   in Loop: Header=BB7_5 Depth=1
	v_mul_f64 v[2:3], v[2:3], s[58:59]
	v_cmp_ge_f64_e32 vcc, v[0:1], v[2:3]
	s_cbranch_vccnz .LBB7_171
; %bb.63:                               ;   in Loop: Header=BB7_5 Depth=1
	ds_read_b32 v0, v11 offset:3096
	s_waitcnt lgkmcnt(0)
	v_readfirstlane_b32 s14, v0
	v_cmp_le_i32_e32 vcc, v28, v0
	s_and_saveexec_b64 s[0:1], vcc
	s_cbranch_execz .LBB7_66
; %bb.64:                               ;   in Loop: Header=BB7_5 Depth=1
	s_add_i32 s13, s79, -1
	s_mul_i32 s12, s14, s27
	s_mul_i32 s13, s13, s24
	v_add_u32_e32 v0, s13, v28
	v_add_u32_e32 v2, s12, v28
	v_ashrrev_i32_e32 v1, 31, v0
	v_ashrrev_i32_e32 v3, 31, v2
	v_lshl_add_u64 v[0:1], v[0:1], 4, s[42:43]
	v_lshl_add_u64 v[2:3], v[2:3], 4, s[44:45]
	s_mov_b64 s[12:13], 0
	v_mov_b32_e32 v4, v28
.LBB7_65:                               ;   Parent Loop BB7_5 Depth=1
                                        ; =>  This Inner Loop Header: Depth=2
	global_load_dwordx4 v[18:21], v[2:3], off
	v_add_u32_e32 v4, 0x100, v4
	v_cmp_lt_i32_e32 vcc, s14, v4
	v_lshl_add_u64 v[2:3], v[2:3], 0, s[54:55]
	s_or_b64 s[12:13], vcc, s[12:13]
	s_waitcnt vmcnt(0)
	global_store_dwordx4 v[0:1], v[18:21], off
	v_lshl_add_u64 v[0:1], v[0:1], 0, s[54:55]
	s_andn2_b64 exec, exec, s[12:13]
	s_cbranch_execnz .LBB7_65
.LBB7_66:                               ;   in Loop: Header=BB7_5 Depth=1
	s_or_b64 exec, exec, s[0:1]
	s_sub_i32 s15, s16, s14
	v_cmp_gt_i32_e32 vcc, s15, v28
	s_and_saveexec_b64 s[0:1], vcc
	s_cbranch_execz .LBB7_69
; %bb.67:                               ;   in Loop: Header=BB7_5 Depth=1
	s_add_i32 s12, s79, -1
	s_mul_i32 s12, s12, s24
	v_add_u32_e32 v0, s14, v29
	s_add_i32 s17, s14, s12
	v_mul_lo_u32 v0, s27, v0
	s_add_i32 s17, s17, 1
	v_add_u32_e32 v0, s14, v0
	s_mov_b64 s[12:13], 0
	v_mov_b32_e32 v2, v28
.LBB7_68:                               ;   Parent Loop BB7_5 Depth=1
                                        ; =>  This Inner Loop Header: Depth=2
	v_ashrrev_i32_e32 v1, 31, v0
	v_lshl_add_u64 v[4:5], v[0:1], 4, s[28:29]
	global_load_dwordx4 v[4:7], v[4:5], off
	v_add_u32_e32 v18, s17, v2
	v_add_u32_e32 v2, 0x100, v2
	v_ashrrev_i32_e32 v19, 31, v18
	v_cmp_le_i32_e32 vcc, s15, v2
	v_add_u32_e32 v0, s75, v0
	v_lshl_add_u64 v[18:19], v[18:19], 4, s[42:43]
	s_or_b64 s[12:13], vcc, s[12:13]
	s_waitcnt vmcnt(0)
	global_store_dwordx4 v[18:19], v[4:7], off
	s_andn2_b64 exec, exec, s[12:13]
	s_cbranch_execnz .LBB7_68
.LBB7_69:                               ;   in Loop: Header=BB7_5 Depth=1
	s_or_b64 exec, exec, s[0:1]
	s_andn2_b64 vcc, exec, s[64:65]
	s_mov_b64 s[0:1], -1
	s_barrier
                                        ; implicit-def: $sgpr64
	s_cbranch_vccnz .LBB7_71
; %bb.70:                               ;   in Loop: Header=BB7_5 Depth=1
	s_add_i32 s0, s79, -1
	s_mul_i32 s64, s0, s24
	s_ashr_i32 s65, s64, 31
	s_mov_b64 s[0:1], 0
.LBB7_71:                               ;   in Loop: Header=BB7_5 Depth=1
	s_andn2_b64 vcc, exec, s[0:1]
	s_cbranch_vccnz .LBB7_81
; %bb.72:                               ;   in Loop: Header=BB7_5 Depth=1
	s_add_i32 s0, s79, 1
	s_mul_i32 s66, s0, s24
	s_sub_i32 s64, s66, s74
	s_ashr_i32 s65, s64, 31
	s_and_saveexec_b64 s[0:1], s[8:9]
	s_cbranch_execz .LBB7_80
; %bb.73:                               ;   in Loop: Header=BB7_5 Depth=1
	s_add_i32 s12, s16, 1
	ds_read_b32 v2, v11 offset:3096
	s_not_b32 s13, s16
	s_mul_i32 s68, s12, s27
	s_add_i32 s17, s24, s13
	s_ashr_i32 s69, s68, 31
	s_ashr_i32 s67, s66, 31
	s_lshl_b64 s[12:13], s[64:65], 4
	s_add_u32 s12, s42, s12
	s_addc_u32 s13, s43, s13
	s_waitcnt lgkmcnt(0)
	v_ashrrev_i32_e32 v3, 31, v2
	s_cmp_gt_i32 s17, 0
	s_cselect_b64 s[14:15], -1, 0
	v_lshlrev_b64 v[2:3], 4, v[2:3]
	s_lshl_b64 s[66:67], s[66:67], 4
	v_lshl_add_u64 v[2:3], v[2:3], 0, s[66:67]
	v_lshl_add_u64 v[0:1], s[68:69], 4, v[12:13]
	;; [unrolled: 1-line block ×3, first 2 shown]
	s_mov_b64 s[66:67], 0
	v_mov_b32_e32 v10, v28
	s_branch .LBB7_76
.LBB7_74:                               ;   in Loop: Header=BB7_76 Depth=2
	v_mov_b64_e32 v[6:7], 0
.LBB7_75:                               ;   in Loop: Header=BB7_76 Depth=2
	v_lshl_add_u64 v[22:23], v[10:11], 4, s[12:13]
	global_load_dwordx4 v[18:21], v[22:23], off
	v_fma_f64 v[24:25], v[4:5], s[56:57], -v[6:7]
	v_fma_f64 v[6:7], v[6:7], 0, -v[4:5]
	v_add_u32_e32 v10, 0x100, v10
	v_cmp_lt_i32_e32 vcc, s16, v10
	s_or_b64 s[66:67], vcc, s[66:67]
	v_lshl_add_u64 v[0:1], v[0:1], 0, s[54:55]
	s_waitcnt vmcnt(0)
	v_mov_b64_e32 v[4:5], v[18:19]
	v_fmac_f64_e32 v[4:5], 0x80000000, v[20:21]
	v_fmac_f64_e32 v[20:21], 0, v[18:19]
	v_add_f64 v[4:5], v[24:25], v[4:5]
	v_add_f64 v[6:7], v[6:7], v[20:21]
	global_store_dwordx4 v[22:23], v[4:7], off
	s_andn2_b64 exec, exec, s[66:67]
	s_cbranch_execz .LBB7_80
.LBB7_76:                               ;   Parent Loop BB7_5 Depth=1
                                        ; =>  This Loop Header: Depth=2
                                        ;       Child Loop BB7_78 Depth 3
	v_mov_b64_e32 v[4:5], 0
	s_andn2_b64 vcc, exec, s[14:15]
	s_cbranch_vccnz .LBB7_74
; %bb.77:                               ;   in Loop: Header=BB7_76 Depth=2
	v_mov_b64_e32 v[18:19], v[2:3]
	v_mov_b64_e32 v[20:21], v[0:1]
	s_mov_b32 s63, s17
	v_mov_b64_e32 v[6:7], 0
.LBB7_78:                               ;   Parent Loop BB7_5 Depth=1
                                        ;     Parent Loop BB7_76 Depth=2
                                        ; =>    This Inner Loop Header: Depth=3
	global_load_dwordx4 v[22:25], v[18:19], off offset:-8
	global_load_dwordx4 v[36:39], v[20:21], off offset:-8
	s_add_i32 s63, s63, -1
	v_lshl_add_u64 v[20:21], v[20:21], 0, s[46:47]
	v_lshl_add_u64 v[18:19], v[18:19], 0, s[50:51]
	s_cmp_eq_u32 s63, 0
	s_waitcnt vmcnt(0)
	v_mul_f64 v[26:27], v[24:25], v[38:39]
	v_mul_f64 v[38:39], v[22:23], v[38:39]
	v_fma_f64 v[22:23], v[22:23], v[36:37], -v[26:27]
	v_fmac_f64_e32 v[38:39], v[24:25], v[36:37]
	v_add_f64 v[6:7], v[6:7], v[22:23]
	v_add_f64 v[4:5], v[4:5], v[38:39]
	s_cbranch_scc0 .LBB7_78
	s_branch .LBB7_75
.LBB7_79:                               ;   in Loop: Header=BB7_5 Depth=1
	s_mov_b64 s[0:1], -1
                                        ; implicit-def: $sgpr63
                                        ; implicit-def: $sgpr12
                                        ; implicit-def: $sgpr8_sgpr9
	s_branch .LBB7_220
.LBB7_80:                               ;   in Loop: Header=BB7_5 Depth=1
	s_or_b64 exec, exec, s[0:1]
	s_barrier
.LBB7_81:                               ;   in Loop: Header=BB7_5 Depth=1
	ds_read_b32 v2, v11 offset:3096
	v_bfrev_b32_e32 v4, -2
	v_mov_b64_e32 v[0:1], 0
	s_waitcnt lgkmcnt(0)
	v_sub_u32_e32 v5, s16, v2
	v_cmp_lt_i32_e32 vcc, v28, v5
	s_and_saveexec_b64 s[66:67], vcc
	s_cbranch_execz .LBB7_85
; %bb.82:                               ;   in Loop: Header=BB7_5 Depth=1
	v_ashrrev_i32_e32 v3, 31, v2
	s_lshl_b64 s[0:1], s[64:65], 4
	v_lshlrev_b64 v[0:1], 4, v[2:3]
	v_lshl_add_u64 v[0:1], s[0:1], 0, v[0:1]
	v_lshl_add_u64 v[2:3], v[16:17], 0, v[0:1]
	v_bfrev_b32_e32 v4, -2
	v_mov_b64_e32 v[0:1], 0
	s_mov_b64 s[68:69], 0
	v_mov_b32_e32 v6, v28
.LBB7_83:                               ;   Parent Loop BB7_5 Depth=1
                                        ; =>  This Inner Loop Header: Depth=2
	global_load_dwordx4 v[18:21], v[2:3], off
	v_cmp_eq_u32_e32 vcc, s78, v4
	v_add_u32_e32 v7, 1, v6
	v_add_u32_e32 v6, 0x100, v6
	v_cmp_ge_i32_e64 s[0:1], v6, v5
	v_lshl_add_u64 v[2:3], v[2:3], 0, s[54:55]
	s_waitcnt vmcnt(0)
	v_xor_b32_e32 v10, 0x80000000, v19
	v_xor_b32_e32 v22, 0x80000000, v21
	v_cmp_gt_f64_e64 s[12:13], 0, v[20:21]
	v_cmp_gt_f64_e64 s[14:15], 0, v[18:19]
	s_nop 0
	v_cndmask_b32_e64 v21, v21, v22, s[12:13]
	v_cndmask_b32_e64 v19, v19, v10, s[14:15]
	v_add_f64 v[18:19], v[18:19], v[20:21]
	v_cmp_lt_f64_e64 s[12:13], v[0:1], v[18:19]
	s_or_b64 vcc, s[12:13], vcc
	v_cndmask_b32_e32 v4, v4, v7, vcc
	v_cndmask_b32_e32 v1, v1, v19, vcc
	s_or_b64 s[68:69], s[0:1], s[68:69]
	v_cndmask_b32_e32 v0, v0, v18, vcc
	s_andn2_b64 exec, exec, s[68:69]
	s_cbranch_execnz .LBB7_83
; %bb.84:                               ;   in Loop: Header=BB7_5 Depth=1
	s_or_b64 exec, exec, s[68:69]
.LBB7_85:                               ;   in Loop: Header=BB7_5 Depth=1
	s_or_b64 exec, exec, s[66:67]
	v_cmp_gt_i32_e32 vcc, 2, v5
	s_and_b64 vcc, exec, vcc
	ds_write_b64 v33, v[0:1]
	ds_write_b32 v34, v4
	s_waitcnt lgkmcnt(0)
	s_barrier
	s_cbranch_vccnz .LBB7_120
; %bb.86:                               ;   in Loop: Header=BB7_5 Depth=1
	s_and_saveexec_b64 s[12:13], s[2:3]
	s_cbranch_execz .LBB7_92
; %bb.87:                               ;   in Loop: Header=BB7_5 Depth=1
	ds_read_b64 v[2:3], v33 offset:1024
	ds_read_b32 v5, v34 offset:512
	s_waitcnt lgkmcnt(1)
	v_cmp_lt_f64_e64 s[14:15], v[0:1], v[2:3]
	v_cmp_nlt_f64_e32 vcc, v[0:1], v[2:3]
	s_and_saveexec_b64 s[66:67], vcc
	s_cbranch_execz .LBB7_89
; %bb.88:                               ;   in Loop: Header=BB7_5 Depth=1
	v_cmp_eq_f64_e32 vcc, v[0:1], v[2:3]
	s_waitcnt lgkmcnt(0)
	v_cmp_gt_i32_e64 s[0:1], v4, v5
	s_and_b64 s[0:1], vcc, s[0:1]
	s_andn2_b64 s[14:15], s[14:15], exec
	s_and_b64 s[0:1], s[0:1], exec
	s_or_b64 s[14:15], s[14:15], s[0:1]
.LBB7_89:                               ;   in Loop: Header=BB7_5 Depth=1
	s_or_b64 exec, exec, s[66:67]
	s_and_saveexec_b64 s[0:1], s[14:15]
	s_cbranch_execz .LBB7_91
; %bb.90:                               ;   in Loop: Header=BB7_5 Depth=1
	v_mov_b64_e32 v[0:1], v[2:3]
	s_waitcnt lgkmcnt(0)
	v_mov_b32_e32 v4, v5
	ds_write_b64 v33, v[2:3]
	ds_write_b32 v34, v5
.LBB7_91:                               ;   in Loop: Header=BB7_5 Depth=1
	s_or_b64 exec, exec, s[0:1]
.LBB7_92:                               ;   in Loop: Header=BB7_5 Depth=1
	s_or_b64 exec, exec, s[12:13]
	s_waitcnt lgkmcnt(0)
	s_barrier
	s_and_saveexec_b64 s[14:15], s[4:5]
	s_cbranch_execz .LBB7_119
; %bb.93:                               ;   in Loop: Header=BB7_5 Depth=1
	ds_read_b64 v[2:3], v33 offset:512
	ds_read_b32 v5, v34 offset:256
	s_waitcnt lgkmcnt(1)
	v_cmp_lt_f64_e64 s[12:13], v[0:1], v[2:3]
	v_cmp_nlt_f64_e32 vcc, v[0:1], v[2:3]
	s_and_saveexec_b64 s[66:67], vcc
	s_cbranch_execz .LBB7_95
; %bb.94:                               ;   in Loop: Header=BB7_5 Depth=1
	v_cmp_eq_f64_e32 vcc, v[0:1], v[2:3]
	s_waitcnt lgkmcnt(0)
	v_cmp_gt_i32_e64 s[0:1], v4, v5
	s_and_b64 s[0:1], vcc, s[0:1]
	s_andn2_b64 s[12:13], s[12:13], exec
	s_and_b64 s[0:1], s[0:1], exec
	s_or_b64 s[12:13], s[12:13], s[0:1]
.LBB7_95:                               ;   in Loop: Header=BB7_5 Depth=1
	s_or_b64 exec, exec, s[66:67]
	s_and_saveexec_b64 s[0:1], s[12:13]
	s_cbranch_execz .LBB7_97
; %bb.96:                               ;   in Loop: Header=BB7_5 Depth=1
	s_waitcnt lgkmcnt(0)
	v_mov_b32_e32 v4, v5
	v_mov_b64_e32 v[0:1], v[2:3]
	ds_write_b64 v33, v[2:3]
	ds_write_b32 v34, v5
.LBB7_97:                               ;   in Loop: Header=BB7_5 Depth=1
	s_or_b64 exec, exec, s[0:1]
	ds_read_b64 v[2:3], v33 offset:256
	s_waitcnt lgkmcnt(1)
	ds_read_b32 v5, v34 offset:128
	s_waitcnt lgkmcnt(1)
	v_cmp_lt_f64_e64 s[12:13], v[0:1], v[2:3]
	v_cmp_nlt_f64_e32 vcc, v[0:1], v[2:3]
	s_and_saveexec_b64 s[66:67], vcc
	s_cbranch_execz .LBB7_99
; %bb.98:                               ;   in Loop: Header=BB7_5 Depth=1
	v_cmp_eq_f64_e32 vcc, v[0:1], v[2:3]
	s_waitcnt lgkmcnt(0)
	v_cmp_gt_i32_e64 s[0:1], v4, v5
	s_and_b64 s[0:1], vcc, s[0:1]
	s_andn2_b64 s[12:13], s[12:13], exec
	s_and_b64 s[0:1], s[0:1], exec
	s_or_b64 s[12:13], s[12:13], s[0:1]
.LBB7_99:                               ;   in Loop: Header=BB7_5 Depth=1
	s_or_b64 exec, exec, s[66:67]
	s_and_saveexec_b64 s[0:1], s[12:13]
	s_cbranch_execz .LBB7_101
; %bb.100:                              ;   in Loop: Header=BB7_5 Depth=1
	s_waitcnt lgkmcnt(0)
	v_mov_b32_e32 v4, v5
	v_mov_b64_e32 v[0:1], v[2:3]
	ds_write_b64 v33, v[2:3]
	ds_write_b32 v34, v5
.LBB7_101:                              ;   in Loop: Header=BB7_5 Depth=1
	s_or_b64 exec, exec, s[0:1]
	ds_read_b64 v[2:3], v33 offset:128
	s_waitcnt lgkmcnt(1)
	ds_read_b32 v5, v34 offset:64
	s_waitcnt lgkmcnt(1)
	v_cmp_lt_f64_e64 s[12:13], v[0:1], v[2:3]
	v_cmp_nlt_f64_e32 vcc, v[0:1], v[2:3]
	s_and_saveexec_b64 s[66:67], vcc
	s_cbranch_execz .LBB7_103
; %bb.102:                              ;   in Loop: Header=BB7_5 Depth=1
	v_cmp_eq_f64_e32 vcc, v[0:1], v[2:3]
	s_waitcnt lgkmcnt(0)
	v_cmp_gt_i32_e64 s[0:1], v4, v5
	s_and_b64 s[0:1], vcc, s[0:1]
	s_andn2_b64 s[12:13], s[12:13], exec
	s_and_b64 s[0:1], s[0:1], exec
	s_or_b64 s[12:13], s[12:13], s[0:1]
.LBB7_103:                              ;   in Loop: Header=BB7_5 Depth=1
	s_or_b64 exec, exec, s[66:67]
	s_and_saveexec_b64 s[0:1], s[12:13]
	s_cbranch_execz .LBB7_105
; %bb.104:                              ;   in Loop: Header=BB7_5 Depth=1
	s_waitcnt lgkmcnt(0)
	v_mov_b32_e32 v4, v5
	v_mov_b64_e32 v[0:1], v[2:3]
	ds_write_b64 v33, v[2:3]
	ds_write_b32 v34, v5
.LBB7_105:                              ;   in Loop: Header=BB7_5 Depth=1
	s_or_b64 exec, exec, s[0:1]
	ds_read_b64 v[2:3], v33 offset:64
	s_waitcnt lgkmcnt(1)
	ds_read_b32 v5, v34 offset:32
	s_waitcnt lgkmcnt(1)
	v_cmp_lt_f64_e64 s[12:13], v[0:1], v[2:3]
	v_cmp_nlt_f64_e32 vcc, v[0:1], v[2:3]
	s_and_saveexec_b64 s[66:67], vcc
	s_cbranch_execz .LBB7_107
; %bb.106:                              ;   in Loop: Header=BB7_5 Depth=1
	v_cmp_eq_f64_e32 vcc, v[0:1], v[2:3]
	s_waitcnt lgkmcnt(0)
	v_cmp_gt_i32_e64 s[0:1], v4, v5
	s_and_b64 s[0:1], vcc, s[0:1]
	s_andn2_b64 s[12:13], s[12:13], exec
	s_and_b64 s[0:1], s[0:1], exec
	s_or_b64 s[12:13], s[12:13], s[0:1]
.LBB7_107:                              ;   in Loop: Header=BB7_5 Depth=1
	;; [unrolled: 28-line block ×4, first 2 shown]
	s_or_b64 exec, exec, s[66:67]
	s_and_saveexec_b64 s[0:1], s[12:13]
	s_cbranch_execz .LBB7_117
; %bb.116:                              ;   in Loop: Header=BB7_5 Depth=1
	s_waitcnt lgkmcnt(0)
	v_mov_b32_e32 v4, v5
	v_mov_b64_e32 v[0:1], v[2:3]
	ds_write_b64 v33, v[2:3]
	ds_write_b32 v34, v5
.LBB7_117:                              ;   in Loop: Header=BB7_5 Depth=1
	s_or_b64 exec, exec, s[0:1]
	ds_read_b64 v[2:3], v33 offset:8
	s_waitcnt lgkmcnt(1)
	ds_read_b32 v5, v34 offset:4
	s_waitcnt lgkmcnt(1)
	v_cmp_eq_f64_e64 s[0:1], v[0:1], v[2:3]
	s_waitcnt lgkmcnt(0)
	v_cmp_gt_i32_e64 s[12:13], v4, v5
	v_cmp_lt_f64_e32 vcc, v[0:1], v[2:3]
	s_and_b64 s[0:1], s[0:1], s[12:13]
	s_or_b64 s[0:1], vcc, s[0:1]
	s_and_b64 exec, exec, s[0:1]
	s_cbranch_execz .LBB7_119
; %bb.118:                              ;   in Loop: Header=BB7_5 Depth=1
	ds_write_b64 v33, v[2:3]
	ds_write_b32 v34, v5
.LBB7_119:                              ;   in Loop: Header=BB7_5 Depth=1
	s_or_b64 exec, exec, s[14:15]
.LBB7_120:                              ;   in Loop: Header=BB7_5 Depth=1
	s_and_saveexec_b64 s[0:1], s[10:11]
	s_cbranch_execz .LBB7_122
; %bb.121:                              ;   in Loop: Header=BB7_5 Depth=1
	ds_read_b64 v[0:1], v11
	s_waitcnt lgkmcnt(0)
	ds_write_b64 v11, v[0:1] offset:3088
.LBB7_122:                              ;   in Loop: Header=BB7_5 Depth=1
	s_or_b64 exec, exec, s[0:1]
	ds_read_b32 v5, v11 offset:3096
	s_waitcnt lgkmcnt(0)
	v_cmp_gt_i32_e32 vcc, 1, v5
	s_cbranch_vccnz .LBB7_165
; %bb.123:                              ;   in Loop: Header=BB7_5 Depth=1
	v_cmp_lt_i32_e32 vcc, v28, v5
	v_bfrev_b32_e32 v4, -2
	v_mov_b64_e32 v[0:1], 0
	s_and_saveexec_b64 s[66:67], vcc
	s_cbranch_execz .LBB7_127
; %bb.124:                              ;   in Loop: Header=BB7_5 Depth=1
	v_lshl_add_u64 v[2:3], s[64:65], 4, v[14:15]
	v_bfrev_b32_e32 v4, -2
	v_mov_b64_e32 v[0:1], 0
	s_mov_b64 s[68:69], 0
	v_mov_b32_e32 v6, v28
.LBB7_125:                              ;   Parent Loop BB7_5 Depth=1
                                        ; =>  This Inner Loop Header: Depth=2
	global_load_dwordx4 v[18:21], v[2:3], off offset:-8
	v_cmp_eq_u32_e32 vcc, s78, v4
	v_add_u32_e32 v7, 1, v6
	v_add_u32_e32 v6, 0x100, v6
	v_cmp_ge_i32_e64 s[0:1], v6, v5
	v_lshl_add_u64 v[2:3], v[2:3], 0, s[54:55]
	s_waitcnt vmcnt(0)
	v_xor_b32_e32 v10, 0x80000000, v19
	v_xor_b32_e32 v22, 0x80000000, v21
	v_cmp_gt_f64_e64 s[12:13], 0, v[20:21]
	v_cmp_gt_f64_e64 s[14:15], 0, v[18:19]
	s_nop 0
	v_cndmask_b32_e64 v21, v21, v22, s[12:13]
	v_cndmask_b32_e64 v19, v19, v10, s[14:15]
	v_add_f64 v[18:19], v[18:19], v[20:21]
	v_cmp_lt_f64_e64 s[12:13], v[0:1], v[18:19]
	s_or_b64 vcc, s[12:13], vcc
	v_cndmask_b32_e32 v4, v4, v7, vcc
	v_cndmask_b32_e32 v1, v1, v19, vcc
	s_or_b64 s[68:69], s[0:1], s[68:69]
	v_cndmask_b32_e32 v0, v0, v18, vcc
	s_andn2_b64 exec, exec, s[68:69]
	s_cbranch_execnz .LBB7_125
; %bb.126:                              ;   in Loop: Header=BB7_5 Depth=1
	s_or_b64 exec, exec, s[68:69]
.LBB7_127:                              ;   in Loop: Header=BB7_5 Depth=1
	s_or_b64 exec, exec, s[66:67]
	v_cmp_eq_u32_e32 vcc, 1, v5
	s_and_b64 vcc, exec, vcc
	ds_write_b64 v33, v[0:1]
	ds_write_b32 v34, v4
	s_waitcnt lgkmcnt(0)
	s_barrier
	s_cbranch_vccnz .LBB7_162
; %bb.128:                              ;   in Loop: Header=BB7_5 Depth=1
	s_and_saveexec_b64 s[12:13], s[2:3]
	s_cbranch_execz .LBB7_134
; %bb.129:                              ;   in Loop: Header=BB7_5 Depth=1
	ds_read_b64 v[2:3], v33 offset:1024
	ds_read_b32 v5, v34 offset:512
	s_waitcnt lgkmcnt(1)
	v_cmp_lt_f64_e64 s[14:15], v[0:1], v[2:3]
	v_cmp_nlt_f64_e32 vcc, v[0:1], v[2:3]
	s_and_saveexec_b64 s[66:67], vcc
	s_cbranch_execz .LBB7_131
; %bb.130:                              ;   in Loop: Header=BB7_5 Depth=1
	v_cmp_eq_f64_e32 vcc, v[0:1], v[2:3]
	s_waitcnt lgkmcnt(0)
	v_cmp_gt_i32_e64 s[0:1], v4, v5
	s_and_b64 s[0:1], vcc, s[0:1]
	s_andn2_b64 s[14:15], s[14:15], exec
	s_and_b64 s[0:1], s[0:1], exec
	s_or_b64 s[14:15], s[14:15], s[0:1]
.LBB7_131:                              ;   in Loop: Header=BB7_5 Depth=1
	s_or_b64 exec, exec, s[66:67]
	s_and_saveexec_b64 s[0:1], s[14:15]
	s_cbranch_execz .LBB7_133
; %bb.132:                              ;   in Loop: Header=BB7_5 Depth=1
	v_mov_b64_e32 v[0:1], v[2:3]
	s_waitcnt lgkmcnt(0)
	v_mov_b32_e32 v4, v5
	ds_write_b64 v33, v[2:3]
	ds_write_b32 v34, v5
.LBB7_133:                              ;   in Loop: Header=BB7_5 Depth=1
	s_or_b64 exec, exec, s[0:1]
.LBB7_134:                              ;   in Loop: Header=BB7_5 Depth=1
	s_or_b64 exec, exec, s[12:13]
	s_waitcnt lgkmcnt(0)
	s_barrier
	s_and_saveexec_b64 s[14:15], s[4:5]
	s_cbranch_execz .LBB7_161
; %bb.135:                              ;   in Loop: Header=BB7_5 Depth=1
	ds_read_b64 v[2:3], v33 offset:512
	ds_read_b32 v5, v34 offset:256
	s_waitcnt lgkmcnt(1)
	v_cmp_lt_f64_e64 s[12:13], v[0:1], v[2:3]
	v_cmp_nlt_f64_e32 vcc, v[0:1], v[2:3]
	s_and_saveexec_b64 s[66:67], vcc
	s_cbranch_execz .LBB7_137
; %bb.136:                              ;   in Loop: Header=BB7_5 Depth=1
	v_cmp_eq_f64_e32 vcc, v[0:1], v[2:3]
	s_waitcnt lgkmcnt(0)
	v_cmp_gt_i32_e64 s[0:1], v4, v5
	s_and_b64 s[0:1], vcc, s[0:1]
	s_andn2_b64 s[12:13], s[12:13], exec
	s_and_b64 s[0:1], s[0:1], exec
	s_or_b64 s[12:13], s[12:13], s[0:1]
.LBB7_137:                              ;   in Loop: Header=BB7_5 Depth=1
	s_or_b64 exec, exec, s[66:67]
	s_and_saveexec_b64 s[0:1], s[12:13]
	s_cbranch_execz .LBB7_139
; %bb.138:                              ;   in Loop: Header=BB7_5 Depth=1
	s_waitcnt lgkmcnt(0)
	v_mov_b32_e32 v4, v5
	v_mov_b64_e32 v[0:1], v[2:3]
	ds_write_b64 v33, v[2:3]
	ds_write_b32 v34, v5
.LBB7_139:                              ;   in Loop: Header=BB7_5 Depth=1
	s_or_b64 exec, exec, s[0:1]
	ds_read_b64 v[2:3], v33 offset:256
	s_waitcnt lgkmcnt(1)
	ds_read_b32 v5, v34 offset:128
	s_waitcnt lgkmcnt(1)
	v_cmp_lt_f64_e64 s[12:13], v[0:1], v[2:3]
	v_cmp_nlt_f64_e32 vcc, v[0:1], v[2:3]
	s_and_saveexec_b64 s[66:67], vcc
	s_cbranch_execz .LBB7_141
; %bb.140:                              ;   in Loop: Header=BB7_5 Depth=1
	v_cmp_eq_f64_e32 vcc, v[0:1], v[2:3]
	s_waitcnt lgkmcnt(0)
	v_cmp_gt_i32_e64 s[0:1], v4, v5
	s_and_b64 s[0:1], vcc, s[0:1]
	s_andn2_b64 s[12:13], s[12:13], exec
	s_and_b64 s[0:1], s[0:1], exec
	s_or_b64 s[12:13], s[12:13], s[0:1]
.LBB7_141:                              ;   in Loop: Header=BB7_5 Depth=1
	s_or_b64 exec, exec, s[66:67]
	s_and_saveexec_b64 s[0:1], s[12:13]
	s_cbranch_execz .LBB7_143
; %bb.142:                              ;   in Loop: Header=BB7_5 Depth=1
	s_waitcnt lgkmcnt(0)
	v_mov_b32_e32 v4, v5
	v_mov_b64_e32 v[0:1], v[2:3]
	ds_write_b64 v33, v[2:3]
	ds_write_b32 v34, v5
.LBB7_143:                              ;   in Loop: Header=BB7_5 Depth=1
	s_or_b64 exec, exec, s[0:1]
	ds_read_b64 v[2:3], v33 offset:128
	s_waitcnt lgkmcnt(1)
	ds_read_b32 v5, v34 offset:64
	s_waitcnt lgkmcnt(1)
	v_cmp_lt_f64_e64 s[12:13], v[0:1], v[2:3]
	v_cmp_nlt_f64_e32 vcc, v[0:1], v[2:3]
	s_and_saveexec_b64 s[66:67], vcc
	s_cbranch_execz .LBB7_145
; %bb.144:                              ;   in Loop: Header=BB7_5 Depth=1
	v_cmp_eq_f64_e32 vcc, v[0:1], v[2:3]
	s_waitcnt lgkmcnt(0)
	v_cmp_gt_i32_e64 s[0:1], v4, v5
	s_and_b64 s[0:1], vcc, s[0:1]
	s_andn2_b64 s[12:13], s[12:13], exec
	s_and_b64 s[0:1], s[0:1], exec
	s_or_b64 s[12:13], s[12:13], s[0:1]
.LBB7_145:                              ;   in Loop: Header=BB7_5 Depth=1
	s_or_b64 exec, exec, s[66:67]
	s_and_saveexec_b64 s[0:1], s[12:13]
	s_cbranch_execz .LBB7_147
; %bb.146:                              ;   in Loop: Header=BB7_5 Depth=1
	s_waitcnt lgkmcnt(0)
	v_mov_b32_e32 v4, v5
	v_mov_b64_e32 v[0:1], v[2:3]
	ds_write_b64 v33, v[2:3]
	ds_write_b32 v34, v5
.LBB7_147:                              ;   in Loop: Header=BB7_5 Depth=1
	s_or_b64 exec, exec, s[0:1]
	ds_read_b64 v[2:3], v33 offset:64
	s_waitcnt lgkmcnt(1)
	ds_read_b32 v5, v34 offset:32
	s_waitcnt lgkmcnt(1)
	v_cmp_lt_f64_e64 s[12:13], v[0:1], v[2:3]
	v_cmp_nlt_f64_e32 vcc, v[0:1], v[2:3]
	s_and_saveexec_b64 s[66:67], vcc
	s_cbranch_execz .LBB7_149
; %bb.148:                              ;   in Loop: Header=BB7_5 Depth=1
	v_cmp_eq_f64_e32 vcc, v[0:1], v[2:3]
	s_waitcnt lgkmcnt(0)
	v_cmp_gt_i32_e64 s[0:1], v4, v5
	s_and_b64 s[0:1], vcc, s[0:1]
	s_andn2_b64 s[12:13], s[12:13], exec
	s_and_b64 s[0:1], s[0:1], exec
	s_or_b64 s[12:13], s[12:13], s[0:1]
.LBB7_149:                              ;   in Loop: Header=BB7_5 Depth=1
	s_or_b64 exec, exec, s[66:67]
	s_and_saveexec_b64 s[0:1], s[12:13]
	s_cbranch_execz .LBB7_151
; %bb.150:                              ;   in Loop: Header=BB7_5 Depth=1
	s_waitcnt lgkmcnt(0)
	v_mov_b32_e32 v4, v5
	v_mov_b64_e32 v[0:1], v[2:3]
	ds_write_b64 v33, v[2:3]
	ds_write_b32 v34, v5
.LBB7_151:                              ;   in Loop: Header=BB7_5 Depth=1
	s_or_b64 exec, exec, s[0:1]
	ds_read_b64 v[2:3], v33 offset:32
	s_waitcnt lgkmcnt(1)
	ds_read_b32 v5, v34 offset:16
	s_waitcnt lgkmcnt(1)
	v_cmp_lt_f64_e64 s[12:13], v[0:1], v[2:3]
	v_cmp_nlt_f64_e32 vcc, v[0:1], v[2:3]
	s_and_saveexec_b64 s[66:67], vcc
	s_cbranch_execz .LBB7_153
; %bb.152:                              ;   in Loop: Header=BB7_5 Depth=1
	v_cmp_eq_f64_e32 vcc, v[0:1], v[2:3]
	s_waitcnt lgkmcnt(0)
	v_cmp_gt_i32_e64 s[0:1], v4, v5
	s_and_b64 s[0:1], vcc, s[0:1]
	s_andn2_b64 s[12:13], s[12:13], exec
	s_and_b64 s[0:1], s[0:1], exec
	s_or_b64 s[12:13], s[12:13], s[0:1]
.LBB7_153:                              ;   in Loop: Header=BB7_5 Depth=1
	s_or_b64 exec, exec, s[66:67]
	s_and_saveexec_b64 s[0:1], s[12:13]
	s_cbranch_execz .LBB7_155
; %bb.154:                              ;   in Loop: Header=BB7_5 Depth=1
	s_waitcnt lgkmcnt(0)
	v_mov_b32_e32 v4, v5
	v_mov_b64_e32 v[0:1], v[2:3]
	ds_write_b64 v33, v[2:3]
	ds_write_b32 v34, v5
.LBB7_155:                              ;   in Loop: Header=BB7_5 Depth=1
	s_or_b64 exec, exec, s[0:1]
	ds_read_b64 v[2:3], v33 offset:16
	s_waitcnt lgkmcnt(1)
	ds_read_b32 v5, v34 offset:8
	s_waitcnt lgkmcnt(1)
	v_cmp_lt_f64_e64 s[12:13], v[0:1], v[2:3]
	v_cmp_nlt_f64_e32 vcc, v[0:1], v[2:3]
	s_and_saveexec_b64 s[66:67], vcc
	s_cbranch_execz .LBB7_157
; %bb.156:                              ;   in Loop: Header=BB7_5 Depth=1
	v_cmp_eq_f64_e32 vcc, v[0:1], v[2:3]
	s_waitcnt lgkmcnt(0)
	v_cmp_gt_i32_e64 s[0:1], v4, v5
	s_and_b64 s[0:1], vcc, s[0:1]
	s_andn2_b64 s[12:13], s[12:13], exec
	s_and_b64 s[0:1], s[0:1], exec
	s_or_b64 s[12:13], s[12:13], s[0:1]
.LBB7_157:                              ;   in Loop: Header=BB7_5 Depth=1
	s_or_b64 exec, exec, s[66:67]
	s_and_saveexec_b64 s[0:1], s[12:13]
	s_cbranch_execz .LBB7_159
; %bb.158:                              ;   in Loop: Header=BB7_5 Depth=1
	s_waitcnt lgkmcnt(0)
	v_mov_b32_e32 v4, v5
	v_mov_b64_e32 v[0:1], v[2:3]
	ds_write_b64 v33, v[2:3]
	ds_write_b32 v34, v5
.LBB7_159:                              ;   in Loop: Header=BB7_5 Depth=1
	s_or_b64 exec, exec, s[0:1]
	ds_read_b64 v[2:3], v33 offset:8
	s_waitcnt lgkmcnt(1)
	ds_read_b32 v5, v34 offset:4
	s_waitcnt lgkmcnt(1)
	v_cmp_eq_f64_e64 s[0:1], v[0:1], v[2:3]
	s_waitcnt lgkmcnt(0)
	v_cmp_gt_i32_e64 s[12:13], v4, v5
	v_cmp_lt_f64_e32 vcc, v[0:1], v[2:3]
	s_and_b64 s[0:1], s[0:1], s[12:13]
	s_or_b64 s[0:1], vcc, s[0:1]
	s_and_b64 exec, exec, s[0:1]
	s_cbranch_execz .LBB7_161
; %bb.160:                              ;   in Loop: Header=BB7_5 Depth=1
	ds_write_b64 v33, v[2:3]
	ds_write_b32 v34, v5
.LBB7_161:                              ;   in Loop: Header=BB7_5 Depth=1
	s_or_b64 exec, exec, s[14:15]
.LBB7_162:                              ;   in Loop: Header=BB7_5 Depth=1
	s_and_saveexec_b64 s[0:1], s[10:11]
	s_cbranch_execz .LBB7_164
; %bb.163:                              ;   in Loop: Header=BB7_5 Depth=1
	ds_read_b64 v[0:1], v11 offset:3088
	ds_read_b64 v[2:3], v11
	s_waitcnt lgkmcnt(0)
	v_cmp_lt_f64_e32 vcc, v[0:1], v[2:3]
	s_nop 1
	v_cndmask_b32_e32 v1, v1, v3, vcc
	v_cndmask_b32_e32 v0, v0, v2, vcc
	ds_write_b64 v11, v[0:1] offset:3088
.LBB7_164:                              ;   in Loop: Header=BB7_5 Depth=1
	s_or_b64 exec, exec, s[0:1]
.LBB7_165:                              ;   in Loop: Header=BB7_5 Depth=1
	s_waitcnt lgkmcnt(0)
	s_barrier
	ds_read_b128 v[2:5], v11 offset:3072
	ds_read_b64 v[0:1], v11 offset:3088
	s_waitcnt lgkmcnt(1)
	v_mul_f64 v[20:21], v[4:5], s[58:59]
	s_waitcnt lgkmcnt(0)
	v_div_scale_f64 v[6:7], s[0:1], v[0:1], v[0:1], v[4:5]
	v_rcp_f64_e32 v[18:19], v[6:7]
	s_nop 0
	v_fma_f64 v[22:23], -v[6:7], v[18:19], 1.0
	v_fmac_f64_e32 v[18:19], v[18:19], v[22:23]
	v_fma_f64 v[22:23], -v[6:7], v[18:19], 1.0
	v_fmac_f64_e32 v[18:19], v[18:19], v[22:23]
	v_div_scale_f64 v[22:23], vcc, v[4:5], v[0:1], v[4:5]
	v_mul_f64 v[24:25], v[22:23], v[18:19]
	v_fma_f64 v[6:7], -v[6:7], v[24:25], v[22:23]
	s_nop 1
	v_div_fmas_f64 v[6:7], v[6:7], v[18:19], v[24:25]
	v_div_fixup_f64 v[4:5], v[6:7], v[0:1], v[4:5]
	v_mul_f64 v[4:5], v[20:21], v[4:5]
	v_cmp_ge_f64_e32 vcc, v[2:3], v[4:5]
	s_cbranch_vccnz .LBB7_171
; %bb.166:                              ;   in Loop: Header=BB7_5 Depth=1
	ds_read_b32 v6, v11 offset:3096
	v_mul_f64 v[0:1], v[0:1], s[58:59]
	s_waitcnt lgkmcnt(0)
	v_readfirstlane_b32 s0, v6
	s_add_i32 s0, s0, s64
	s_ashr_i32 s1, s0, 31
	s_lshl_b64 s[0:1], s[0:1], 4
	s_add_u32 s0, s42, s0
	s_addc_u32 s1, s43, s1
	global_load_dwordx4 v[2:5], v11, s[0:1]
	v_readfirstlane_b32 s63, v6
	s_waitcnt vmcnt(0)
	v_xor_b32_e32 v6, 0x80000000, v3
	v_cmp_gt_f64_e32 vcc, 0, v[2:3]
	v_xor_b32_e32 v7, 0x80000000, v5
	s_nop 0
	v_cndmask_b32_e32 v3, v3, v6, vcc
	v_cmp_gt_f64_e32 vcc, 0, v[4:5]
	s_nop 1
	v_cndmask_b32_e32 v5, v5, v7, vcc
	v_add_f64 v[2:3], v[2:3], v[4:5]
	v_cmp_nge_f64_e32 vcc, v[2:3], v[0:1]
	s_cbranch_vccnz .LBB7_191
; %bb.167:                              ;   in Loop: Header=BB7_5 Depth=1
	s_and_saveexec_b64 s[0:1], s[8:9]
	s_cbranch_execz .LBB7_170
; %bb.168:                              ;   in Loop: Header=BB7_5 Depth=1
	v_add_u32_e32 v0, s62, v28
	v_add_u32_e32 v2, s64, v28
	v_ashrrev_i32_e32 v1, 31, v0
	v_ashrrev_i32_e32 v3, 31, v2
	v_lshl_add_u64 v[0:1], v[0:1], 4, s[42:43]
	v_lshl_add_u64 v[2:3], v[2:3], 4, s[42:43]
	s_mov_b64 s[8:9], 0
	v_mov_b32_e32 v4, v28
.LBB7_169:                              ;   Parent Loop BB7_5 Depth=1
                                        ; =>  This Inner Loop Header: Depth=2
	global_load_dwordx4 v[18:21], v[2:3], off
	v_add_u32_e32 v4, 0x100, v4
	v_cmp_lt_i32_e32 vcc, s16, v4
	v_lshl_add_u64 v[2:3], v[2:3], 0, s[54:55]
	s_or_b64 s[8:9], vcc, s[8:9]
	s_waitcnt vmcnt(0)
	global_store_dwordx4 v[0:1], v[18:21], off
	v_lshl_add_u64 v[0:1], v[0:1], 0, s[54:55]
	s_andn2_b64 exec, exec, s[8:9]
	s_cbranch_execnz .LBB7_169
.LBB7_170:                              ;   in Loop: Header=BB7_5 Depth=1
	s_or_b64 exec, exec, s[0:1]
	s_mov_b64 s[0:1], -1
	s_mov_b32 s8, -1
	s_barrier
	s_add_i32 s8, s8, s16
	s_add_i32 s17, s8, 1
	s_cmp_eq_u32 s63, s17
	s_cbranch_scc0 .LBB7_172
	s_branch .LBB7_187
.LBB7_171:                              ;   in Loop: Header=BB7_5 Depth=1
	s_mov_b64 s[0:1], -1
	s_mov_b32 s8, -1
	s_mov_b32 s63, s16
	s_add_i32 s8, s8, s16
	s_add_i32 s17, s8, 1
	s_cmp_eq_u32 s63, s17
	s_cbranch_scc1 .LBB7_187
.LBB7_172:                              ;   in Loop: Header=BB7_5 Depth=1
	s_and_saveexec_b64 s[12:13], s[10:11]
	s_cbranch_execz .LBB7_174
; %bb.173:                              ;   in Loop: Header=BB7_5 Depth=1
	s_mul_i32 s14, s17, s73
	s_ashr_i32 s15, s14, 31
	s_lshl_b64 s[14:15], s[14:15], 4
	s_add_u32 s14, s28, s14
	s_addc_u32 s15, s29, s15
	global_load_dwordx4 v[0:3], v11, s[14:15]
	s_mul_i32 s14, s63, s73
	s_ashr_i32 s15, s14, 31
	s_lshl_b64 s[14:15], s[14:15], 4
	s_add_u32 s14, s28, s14
	s_addc_u32 s15, s29, s15
	s_waitcnt vmcnt(0)
	global_store_dwordx4 v11, v[0:3], s[14:15]
.LBB7_174:                              ;   in Loop: Header=BB7_5 Depth=1
	s_or_b64 exec, exec, s[12:13]
	s_sub_i32 s64, s8, s63
	v_cmp_gt_i32_e32 vcc, s64, v28
	s_mul_i32 s9, s17, s27
	s_and_saveexec_b64 s[12:13], vcc
	s_cbranch_execz .LBB7_177
; %bb.175:                              ;   in Loop: Header=BB7_5 Depth=1
	v_add_u32_e32 v0, s63, v29
	s_add_i32 s65, s63, s9
	v_mul_lo_u32 v0, s27, v0
	v_add_u32_e32 v0, s63, v0
	s_add_i32 s65, s65, 1
	s_mov_b64 s[14:15], 0
	v_mov_b32_e32 v2, v28
.LBB7_176:                              ;   Parent Loop BB7_5 Depth=1
                                        ; =>  This Inner Loop Header: Depth=2
	v_add_u32_e32 v4, s65, v2
	v_ashrrev_i32_e32 v5, 31, v4
	v_lshl_add_u64 v[4:5], v[4:5], 4, s[28:29]
	global_load_dwordx4 v[4:7], v[4:5], off
	v_add_u32_e32 v2, 0x100, v2
	v_ashrrev_i32_e32 v1, 31, v0
	v_cmp_le_i32_e32 vcc, s64, v2
	v_lshl_add_u64 v[18:19], v[0:1], 4, s[28:29]
	v_add_u32_e32 v0, s75, v0
	s_or_b64 s[14:15], vcc, s[14:15]
	s_waitcnt vmcnt(0)
	global_store_dwordx4 v[18:19], v[4:7], off
	s_andn2_b64 exec, exec, s[14:15]
	s_cbranch_execnz .LBB7_176
.LBB7_177:                              ;   in Loop: Header=BB7_5 Depth=1
	s_or_b64 exec, exec, s[12:13]
	v_cmp_gt_i32_e32 vcc, s63, v28
	s_and_saveexec_b64 s[12:13], vcc
	s_cbranch_execz .LBB7_180
; %bb.178:                              ;   in Loop: Header=BB7_5 Depth=1
	s_mul_i32 s14, s63, s27
	v_add_u32_e32 v0, s14, v28
	v_add_u32_e32 v2, s9, v28
	v_ashrrev_i32_e32 v1, 31, v0
	v_ashrrev_i32_e32 v3, 31, v2
	v_lshl_add_u64 v[0:1], v[0:1], 4, s[44:45]
	v_lshl_add_u64 v[2:3], v[2:3], 4, s[44:45]
	s_mov_b64 s[14:15], 0
	v_mov_b32_e32 v4, v28
.LBB7_179:                              ;   Parent Loop BB7_5 Depth=1
                                        ; =>  This Inner Loop Header: Depth=2
	global_load_dwordx4 v[18:21], v[2:3], off
	v_add_u32_e32 v4, 0x100, v4
	v_cmp_le_i32_e32 vcc, s63, v4
	v_lshl_add_u64 v[2:3], v[2:3], 0, s[54:55]
	s_or_b64 s[14:15], vcc, s[14:15]
	s_waitcnt vmcnt(0)
	global_store_dwordx4 v[0:1], v[18:21], off
	v_lshl_add_u64 v[0:1], v[0:1], 0, s[54:55]
	s_andn2_b64 exec, exec, s[14:15]
	s_cbranch_execnz .LBB7_179
.LBB7_180:                              ;   in Loop: Header=BB7_5 Depth=1
	s_or_b64 exec, exec, s[12:13]
	s_not_b32 s9, s16
	s_add_i32 s64, s24, s9
	v_cmp_gt_i32_e32 vcc, s64, v28
	s_barrier
	s_and_saveexec_b64 s[12:13], vcc
	s_cbranch_execz .LBB7_183
; %bb.181:                              ;   in Loop: Header=BB7_5 Depth=1
	v_add_u32_e32 v0, s16, v29
	s_ashr_i32 s9, s8, 31
	v_mul_lo_u32 v0, s27, v0
	s_mov_b64 s[14:15], 0
	v_mov_b32_e32 v2, v28
.LBB7_182:                              ;   Parent Loop BB7_5 Depth=1
                                        ; =>  This Inner Loop Header: Depth=2
	v_ashrrev_i32_e32 v1, 31, v0
	v_lshl_add_u64 v[4:5], v[0:1], 0, s[8:9]
	v_lshl_add_u64 v[22:23], v[4:5], 4, s[28:29]
	v_add_u32_e32 v4, s63, v0
	v_ashrrev_i32_e32 v5, 31, v4
	v_lshl_add_u64 v[24:25], v[4:5], 4, s[28:29]
	global_load_dwordx4 v[4:7], v[22:23], off offset:16
	global_load_dwordx4 v[18:21], v[24:25], off
	v_add_u32_e32 v2, 0x100, v2
	v_cmp_le_i32_e32 vcc, s64, v2
	s_or_b64 s[14:15], vcc, s[14:15]
	v_add_u32_e32 v0, s75, v0
	s_waitcnt vmcnt(1)
	ds_write2_b64 v32, v[4:5], v[6:7] offset1:1
	s_waitcnt vmcnt(0)
	global_store_dwordx4 v[22:23], v[18:21], off offset:16
	global_store_dwordx4 v[24:25], v[4:7], off
	s_andn2_b64 exec, exec, s[14:15]
	s_cbranch_execnz .LBB7_182
.LBB7_183:                              ;   in Loop: Header=BB7_5 Depth=1
	s_or_b64 exec, exec, s[12:13]
	s_sub_i32 s17, s24, s17
	v_cmp_gt_i32_e32 vcc, s17, v28
	s_and_saveexec_b64 s[12:13], vcc
	s_cbranch_execz .LBB7_186
; %bb.184:                              ;   in Loop: Header=BB7_5 Depth=1
	v_add_u32_e32 v0, s8, v9
	s_ashr_i32 s9, s8, 31
	v_mul_lo_u32 v0, s24, v0
	s_mov_b64 s[14:15], 0
	v_mov_b32_e32 v2, v28
.LBB7_185:                              ;   Parent Loop BB7_5 Depth=1
                                        ; =>  This Inner Loop Header: Depth=2
	v_ashrrev_i32_e32 v1, 31, v0
	v_lshl_add_u64 v[4:5], v[0:1], 0, s[8:9]
	v_lshl_add_u64 v[22:23], v[4:5], 4, s[42:43]
	v_add_u32_e32 v4, s63, v0
	v_ashrrev_i32_e32 v5, 31, v4
	v_lshl_add_u64 v[24:25], v[4:5], 4, s[42:43]
	global_load_dwordx4 v[4:7], v[22:23], off offset:16
	global_load_dwordx4 v[18:21], v[24:25], off
	v_add_u32_e32 v2, 0x100, v2
	v_cmp_le_i32_e32 vcc, s17, v2
	s_or_b64 s[14:15], vcc, s[14:15]
	v_add_u32_e32 v0, s76, v0
	s_waitcnt vmcnt(1)
	ds_write2_b64 v31, v[4:5], v[6:7] offset1:1
	s_waitcnt vmcnt(0)
	global_store_dwordx4 v[22:23], v[18:21], off offset:16
	global_store_dwordx4 v[24:25], v[4:7], off
	s_andn2_b64 exec, exec, s[14:15]
	s_cbranch_execnz .LBB7_185
.LBB7_186:                              ;   in Loop: Header=BB7_5 Depth=1
	s_or_b64 exec, exec, s[12:13]
	s_waitcnt lgkmcnt(0)
	s_barrier
.LBB7_187:                              ;   in Loop: Header=BB7_5 Depth=1
	s_xor_b64 s[0:1], s[0:1], -1
	s_mov_b64 s[8:9], -1
	s_and_b64 vcc, exec, s[0:1]
	s_cbranch_vccz .LBB7_209
; %bb.188:                              ;   in Loop: Header=BB7_5 Depth=1
	s_cmp_lt_i32 s16, 2
	s_cbranch_scc1 .LBB7_206
; %bb.189:                              ;   in Loop: Header=BB7_5 Depth=1
	s_ashr_i32 s1, s62, 31
	s_ashr_i32 s12, s16, 31
	s_add_u32 s0, s62, s16
	s_addc_u32 s1, s1, s12
	s_lshl_b64 s[0:1], s[0:1], 4
	s_add_u32 s0, s42, s0
	s_addc_u32 s1, s43, s1
	global_load_dwordx4 v[0:3], v11, s[0:1] offset:-16
	s_add_i32 s0, s62, s16
	s_ashr_i32 s1, s0, 31
	s_lshl_b64 s[0:1], s[0:1], 4
	s_add_u32 s0, s42, s0
	s_addc_u32 s1, s43, s1
	global_load_dwordx4 v[4:7], v11, s[0:1]
	s_waitcnt vmcnt(1)
	v_cmp_ngt_f64_e64 s[0:1], |v[0:1]|, |v[2:3]|
	s_and_b64 vcc, exec, s[0:1]
	s_cbranch_vccz .LBB7_192
; %bb.190:                              ;   in Loop: Header=BB7_5 Depth=1
	v_div_scale_f64 v[18:19], s[8:9], v[2:3], v[2:3], v[0:1]
	v_rcp_f64_e32 v[20:21], v[18:19]
	v_div_scale_f64 v[22:23], vcc, v[0:1], v[2:3], v[0:1]
	v_fma_f64 v[24:25], -v[18:19], v[20:21], 1.0
	v_fmac_f64_e32 v[20:21], v[20:21], v[24:25]
	v_fma_f64 v[24:25], -v[18:19], v[20:21], 1.0
	v_fmac_f64_e32 v[20:21], v[20:21], v[24:25]
	v_mul_f64 v[24:25], v[22:23], v[20:21]
	v_fma_f64 v[18:19], -v[18:19], v[24:25], v[22:23]
	v_div_fmas_f64 v[18:19], v[18:19], v[20:21], v[24:25]
	v_div_fixup_f64 v[20:21], v[18:19], v[2:3], v[0:1]
	v_fma_f64 v[18:19], v[0:1], v[20:21], v[2:3]
	v_div_scale_f64 v[22:23], s[8:9], v[18:19], v[18:19], 1.0
	v_rcp_f64_e32 v[24:25], v[22:23]
	s_nop 0
	v_fma_f64 v[26:27], -v[22:23], v[24:25], 1.0
	v_fmac_f64_e32 v[24:25], v[24:25], v[26:27]
	v_fma_f64 v[26:27], -v[22:23], v[24:25], 1.0
	v_fmac_f64_e32 v[24:25], v[24:25], v[26:27]
	v_div_scale_f64 v[26:27], vcc, 1.0, v[18:19], 1.0
	v_mul_f64 v[36:37], v[26:27], v[24:25]
	v_fma_f64 v[22:23], -v[22:23], v[36:37], v[26:27]
	s_nop 1
	v_div_fmas_f64 v[22:23], v[22:23], v[24:25], v[36:37]
	v_div_fixup_f64 v[22:23], v[22:23], v[18:19], 1.0
	s_waitcnt vmcnt(0)
	v_fma_f64 v[18:19], v[20:21], v[4:5], v[6:7]
	v_fma_f64 v[20:21], v[20:21], v[6:7], -v[4:5]
	v_mul_f64 v[18:19], v[18:19], v[22:23]
	v_mul_f64 v[20:21], v[22:23], v[20:21]
	s_cbranch_execz .LBB7_193
	s_branch .LBB7_194
.LBB7_191:                              ;   in Loop: Header=BB7_5 Depth=1
	s_mov_b64 s[0:1], 0
	s_mov_b32 s8, -2
	s_add_i32 s8, s8, s16
	s_add_i32 s17, s8, 1
	s_cmp_eq_u32 s63, s17
	s_cbranch_scc0 .LBB7_172
	s_branch .LBB7_187
.LBB7_192:                              ;   in Loop: Header=BB7_5 Depth=1
                                        ; implicit-def: $vgpr18_vgpr19
                                        ; implicit-def: $vgpr20_vgpr21
	s_andn2_b64 vcc, exec, s[8:9]
	s_cbranch_vccnz .LBB7_194
.LBB7_193:                              ;   in Loop: Header=BB7_5 Depth=1
	v_div_scale_f64 v[18:19], s[8:9], v[0:1], v[0:1], v[2:3]
	v_rcp_f64_e32 v[20:21], v[18:19]
	v_div_scale_f64 v[22:23], vcc, v[2:3], v[0:1], v[2:3]
	v_fma_f64 v[24:25], -v[18:19], v[20:21], 1.0
	v_fmac_f64_e32 v[20:21], v[20:21], v[24:25]
	v_fma_f64 v[24:25], -v[18:19], v[20:21], 1.0
	v_fmac_f64_e32 v[20:21], v[20:21], v[24:25]
	v_mul_f64 v[24:25], v[22:23], v[20:21]
	v_fma_f64 v[18:19], -v[18:19], v[24:25], v[22:23]
	v_div_fmas_f64 v[18:19], v[18:19], v[20:21], v[24:25]
	v_div_fixup_f64 v[20:21], v[18:19], v[0:1], v[2:3]
	v_fma_f64 v[18:19], v[2:3], v[20:21], v[0:1]
	v_div_scale_f64 v[22:23], s[8:9], v[18:19], v[18:19], 1.0
	v_rcp_f64_e32 v[24:25], v[22:23]
	s_nop 0
	v_fma_f64 v[26:27], -v[22:23], v[24:25], 1.0
	v_fmac_f64_e32 v[24:25], v[24:25], v[26:27]
	v_fma_f64 v[26:27], -v[22:23], v[24:25], 1.0
	v_fmac_f64_e32 v[24:25], v[24:25], v[26:27]
	v_div_scale_f64 v[26:27], vcc, 1.0, v[18:19], 1.0
	v_mul_f64 v[36:37], v[26:27], v[24:25]
	v_fma_f64 v[22:23], -v[22:23], v[36:37], v[26:27]
	s_nop 1
	v_div_fmas_f64 v[22:23], v[22:23], v[24:25], v[36:37]
	v_div_fixup_f64 v[22:23], v[22:23], v[18:19], 1.0
	s_waitcnt vmcnt(0)
	v_fma_f64 v[18:19], v[20:21], v[6:7], v[4:5]
	v_fma_f64 v[4:5], -v[20:21], v[4:5], v[6:7]
	v_mul_f64 v[18:19], v[22:23], v[18:19]
	v_mul_f64 v[20:21], v[4:5], v[22:23]
.LBB7_194:                              ;   in Loop: Header=BB7_5 Depth=1
	s_add_i32 s8, s79, -1
	s_mul_i32 s8, s8, s24
	s_ashr_i32 s9, s8, 31
	s_add_u32 s14, s8, s16
	s_addc_u32 s15, s9, s12
	s_lshl_b64 s[12:13], s[14:15], 4
	s_add_u32 s12, s42, s12
	s_addc_u32 s13, s43, s13
	global_load_dwordx4 v[4:7], v11, s[12:13] offset:-16
	s_and_b64 vcc, exec, s[0:1]
	s_cbranch_vccz .LBB7_196
; %bb.195:                              ;   in Loop: Header=BB7_5 Depth=1
	v_div_scale_f64 v[22:23], s[0:1], v[2:3], v[2:3], v[0:1]
	v_rcp_f64_e32 v[24:25], v[22:23]
	v_div_scale_f64 v[26:27], vcc, v[0:1], v[2:3], v[0:1]
	v_fma_f64 v[36:37], -v[22:23], v[24:25], 1.0
	v_fmac_f64_e32 v[24:25], v[24:25], v[36:37]
	v_fma_f64 v[36:37], -v[22:23], v[24:25], 1.0
	v_fmac_f64_e32 v[24:25], v[24:25], v[36:37]
	v_mul_f64 v[36:37], v[26:27], v[24:25]
	v_fma_f64 v[22:23], -v[22:23], v[36:37], v[26:27]
	v_div_fmas_f64 v[22:23], v[22:23], v[24:25], v[36:37]
	v_div_fixup_f64 v[24:25], v[22:23], v[2:3], v[0:1]
	v_fma_f64 v[22:23], v[0:1], v[24:25], v[2:3]
	v_div_scale_f64 v[26:27], s[0:1], v[22:23], v[22:23], 1.0
	v_rcp_f64_e32 v[36:37], v[26:27]
	s_nop 0
	v_fma_f64 v[38:39], -v[26:27], v[36:37], 1.0
	v_fmac_f64_e32 v[36:37], v[36:37], v[38:39]
	v_fma_f64 v[38:39], -v[26:27], v[36:37], 1.0
	v_fmac_f64_e32 v[36:37], v[36:37], v[38:39]
	v_div_scale_f64 v[38:39], vcc, 1.0, v[22:23], 1.0
	v_mul_f64 v[40:41], v[38:39], v[36:37]
	v_fma_f64 v[26:27], -v[26:27], v[40:41], v[38:39]
	s_nop 1
	v_div_fmas_f64 v[26:27], v[26:27], v[36:37], v[40:41]
	v_div_fixup_f64 v[26:27], v[26:27], v[22:23], 1.0
	s_waitcnt vmcnt(0)
	v_fma_f64 v[22:23], v[24:25], v[4:5], v[6:7]
	v_fma_f64 v[24:25], v[24:25], v[6:7], -v[4:5]
	v_mul_f64 v[22:23], v[26:27], v[22:23]
	v_mul_f64 v[24:25], v[26:27], v[24:25]
	s_cbranch_execz .LBB7_197
	s_branch .LBB7_198
.LBB7_196:                              ;   in Loop: Header=BB7_5 Depth=1
                                        ; implicit-def: $vgpr22_vgpr23
                                        ; implicit-def: $vgpr24_vgpr25
.LBB7_197:                              ;   in Loop: Header=BB7_5 Depth=1
	v_div_scale_f64 v[22:23], s[0:1], v[0:1], v[0:1], v[2:3]
	v_rcp_f64_e32 v[24:25], v[22:23]
	v_div_scale_f64 v[26:27], vcc, v[2:3], v[0:1], v[2:3]
	v_fma_f64 v[36:37], -v[22:23], v[24:25], 1.0
	v_fmac_f64_e32 v[24:25], v[24:25], v[36:37]
	v_fma_f64 v[36:37], -v[22:23], v[24:25], 1.0
	v_fmac_f64_e32 v[24:25], v[24:25], v[36:37]
	v_mul_f64 v[36:37], v[26:27], v[24:25]
	v_fma_f64 v[22:23], -v[22:23], v[36:37], v[26:27]
	v_div_fmas_f64 v[22:23], v[22:23], v[24:25], v[36:37]
	v_div_fixup_f64 v[24:25], v[22:23], v[0:1], v[2:3]
	v_fma_f64 v[22:23], v[2:3], v[24:25], v[0:1]
	v_div_scale_f64 v[26:27], s[0:1], v[22:23], v[22:23], 1.0
	v_rcp_f64_e32 v[36:37], v[26:27]
	s_nop 0
	v_fma_f64 v[38:39], -v[26:27], v[36:37], 1.0
	v_fmac_f64_e32 v[36:37], v[36:37], v[38:39]
	v_fma_f64 v[38:39], -v[26:27], v[36:37], 1.0
	v_fmac_f64_e32 v[36:37], v[36:37], v[38:39]
	v_div_scale_f64 v[38:39], vcc, 1.0, v[22:23], 1.0
	v_mul_f64 v[40:41], v[38:39], v[36:37]
	v_fma_f64 v[26:27], -v[26:27], v[40:41], v[38:39]
	s_nop 1
	v_div_fmas_f64 v[26:27], v[26:27], v[36:37], v[40:41]
	v_div_fixup_f64 v[26:27], v[26:27], v[22:23], 1.0
	s_waitcnt vmcnt(0)
	v_fma_f64 v[22:23], v[24:25], v[6:7], v[4:5]
	v_fma_f64 v[4:5], -v[24:25], v[4:5], v[6:7]
	v_mul_f64 v[22:23], v[26:27], v[22:23]
	v_mul_f64 v[24:25], v[26:27], v[4:5]
.LBB7_198:                              ;   in Loop: Header=BB7_5 Depth=1
	s_waitcnt vmcnt(0)
	v_mul_f64 v[4:5], v[20:21], v[24:25]
	v_mul_f64 v[26:27], v[20:21], v[22:23]
	v_fma_f64 v[4:5], v[18:19], v[22:23], -v[4:5]
	v_fmac_f64_e32 v[26:27], v[18:19], v[24:25]
	v_add_f64 v[6:7], v[4:5], -1.0
	v_mul_f64 v[4:5], v[2:3], v[26:27]
	v_fma_f64 v[4:5], v[0:1], v[6:7], -v[4:5]
	v_mul_f64 v[6:7], v[2:3], v[6:7]
	v_fmac_f64_e32 v[6:7], v[0:1], v[26:27]
	v_cmp_ngt_f64_e64 s[0:1], |v[4:5]|, |v[6:7]|
	s_and_b64 vcc, exec, s[0:1]
	s_cbranch_vccz .LBB7_200
; %bb.199:                              ;   in Loop: Header=BB7_5 Depth=1
	v_div_scale_f64 v[0:1], s[0:1], v[6:7], v[6:7], v[4:5]
	v_rcp_f64_e32 v[2:3], v[0:1]
	v_div_scale_f64 v[26:27], vcc, v[4:5], v[6:7], v[4:5]
	v_fma_f64 v[36:37], -v[0:1], v[2:3], 1.0
	v_fmac_f64_e32 v[2:3], v[2:3], v[36:37]
	v_fma_f64 v[36:37], -v[0:1], v[2:3], 1.0
	v_fmac_f64_e32 v[2:3], v[2:3], v[36:37]
	v_mul_f64 v[36:37], v[26:27], v[2:3]
	v_fma_f64 v[0:1], -v[0:1], v[36:37], v[26:27]
	v_div_fmas_f64 v[0:1], v[0:1], v[2:3], v[36:37]
	v_div_fixup_f64 v[2:3], v[0:1], v[6:7], v[4:5]
	v_fma_f64 v[0:1], v[4:5], v[2:3], v[6:7]
	v_div_scale_f64 v[26:27], s[0:1], v[0:1], v[0:1], 1.0
	v_rcp_f64_e32 v[36:37], v[26:27]
	s_nop 0
	v_fma_f64 v[38:39], -v[26:27], v[36:37], 1.0
	v_fmac_f64_e32 v[36:37], v[36:37], v[38:39]
	v_fma_f64 v[38:39], -v[26:27], v[36:37], 1.0
	v_fmac_f64_e32 v[36:37], v[36:37], v[38:39]
	v_div_scale_f64 v[38:39], vcc, 1.0, v[0:1], 1.0
	v_mul_f64 v[40:41], v[38:39], v[36:37]
	v_fma_f64 v[26:27], -v[26:27], v[40:41], v[38:39]
	s_nop 1
	v_div_fmas_f64 v[26:27], v[26:27], v[36:37], v[40:41]
	v_div_fixup_f64 v[26:27], v[26:27], v[0:1], 1.0
	v_add_f64 v[0:1], v[2:3], 0
	v_fma_f64 v[2:3], v[2:3], 0, -1.0
	v_mul_f64 v[0:1], v[0:1], v[26:27]
	v_mul_f64 v[2:3], v[2:3], v[26:27]
	s_cbranch_execz .LBB7_201
	s_branch .LBB7_202
.LBB7_200:                              ;   in Loop: Header=BB7_5 Depth=1
                                        ; implicit-def: $vgpr0_vgpr1
                                        ; implicit-def: $vgpr2_vgpr3
.LBB7_201:                              ;   in Loop: Header=BB7_5 Depth=1
	v_div_scale_f64 v[0:1], s[0:1], v[4:5], v[4:5], v[6:7]
	v_rcp_f64_e32 v[2:3], v[0:1]
	v_div_scale_f64 v[26:27], vcc, v[6:7], v[4:5], v[6:7]
	v_fma_f64 v[36:37], -v[0:1], v[2:3], 1.0
	v_fmac_f64_e32 v[2:3], v[2:3], v[36:37]
	v_fma_f64 v[36:37], -v[0:1], v[2:3], 1.0
	v_fmac_f64_e32 v[2:3], v[2:3], v[36:37]
	v_mul_f64 v[36:37], v[26:27], v[2:3]
	v_fma_f64 v[0:1], -v[0:1], v[36:37], v[26:27]
	v_div_fmas_f64 v[0:1], v[0:1], v[2:3], v[36:37]
	v_div_fixup_f64 v[2:3], v[0:1], v[4:5], v[6:7]
	v_fmac_f64_e32 v[4:5], v[6:7], v[2:3]
	v_div_scale_f64 v[0:1], s[0:1], v[4:5], v[4:5], 1.0
	v_rcp_f64_e32 v[6:7], v[0:1]
	s_nop 0
	v_fma_f64 v[26:27], -v[0:1], v[6:7], 1.0
	v_fmac_f64_e32 v[6:7], v[6:7], v[26:27]
	v_fma_f64 v[26:27], -v[0:1], v[6:7], 1.0
	v_fmac_f64_e32 v[6:7], v[6:7], v[26:27]
	v_div_scale_f64 v[26:27], vcc, 1.0, v[4:5], 1.0
	v_mul_f64 v[36:37], v[26:27], v[6:7]
	v_fma_f64 v[0:1], -v[0:1], v[36:37], v[26:27]
	s_nop 1
	v_div_fmas_f64 v[0:1], v[0:1], v[6:7], v[36:37]
	v_div_fixup_f64 v[4:5], v[0:1], v[4:5], 1.0
	v_fma_f64 v[0:1], v[2:3], 0, 1.0
	v_add_f64 v[2:3], -v[2:3], 0
	v_mul_f64 v[0:1], v[0:1], v[4:5]
	v_mul_f64 v[2:3], v[2:3], v[4:5]
.LBB7_202:                              ;   in Loop: Header=BB7_5 Depth=1
	s_add_i32 s12, s16, -2
	v_cmp_ge_i32_e32 vcc, s12, v28
	s_and_saveexec_b64 s[0:1], vcc
	s_cbranch_execz .LBB7_205
; %bb.203:                              ;   in Loop: Header=BB7_5 Depth=1
	s_add_i32 s9, s16, -1
	s_mul_i32 s9, s9, s27
	v_add_u32_e32 v4, s8, v28
	v_add_u32_e32 v6, s9, v28
	;; [unrolled: 1-line block ×3, first 2 shown]
	v_ashrrev_i32_e32 v5, 31, v4
	v_ashrrev_i32_e32 v7, 31, v6
	;; [unrolled: 1-line block ×3, first 2 shown]
	s_mul_i32 s13, s16, s27
	v_lshl_add_u64 v[4:5], v[4:5], 4, s[48:49]
	v_lshl_add_u64 v[6:7], v[6:7], 4, s[52:53]
	;; [unrolled: 1-line block ×3, first 2 shown]
	s_mov_b64 s[8:9], 0
	v_mov_b32_e32 v10, v28
.LBB7_204:                              ;   Parent Loop BB7_5 Depth=1
                                        ; =>  This Inner Loop Header: Depth=2
	global_load_dwordx4 v[36:39], v[4:5], off offset:-8
	global_load_dwordx4 v[40:43], v[26:27], off offset:-8
	s_waitcnt vmcnt(1)
	v_mul_f64 v[44:45], v[20:21], v[38:39]
	v_mul_f64 v[38:39], v[18:19], v[38:39]
	v_fma_f64 v[44:45], v[18:19], v[36:37], -v[44:45]
	v_fmac_f64_e32 v[38:39], v[20:21], v[36:37]
	s_waitcnt vmcnt(0)
	v_add_f64 v[36:37], v[44:45], -v[40:41]
	v_add_f64 v[40:41], v[38:39], -v[42:43]
	v_mul_f64 v[42:43], v[2:3], v[40:41]
	v_mul_f64 v[38:39], v[2:3], v[36:37]
	v_fma_f64 v[36:37], v[0:1], v[36:37], -v[42:43]
	v_fmac_f64_e32 v[38:39], v[0:1], v[40:41]
	global_store_dwordx4 v[6:7], v[36:39], off offset:-8
	global_load_dwordx4 v[36:39], v[26:27], off offset:-8
	s_nop 0
	global_load_dwordx4 v[40:43], v[4:5], off offset:-8
	v_add_u32_e32 v44, s13, v10
	v_add_u32_e32 v10, 0x100, v10
	v_ashrrev_i32_e32 v45, 31, v44
	v_cmp_lt_i32_e32 vcc, s12, v10
	v_lshl_add_u64 v[44:45], v[44:45], 4, s[28:29]
	s_or_b64 s[8:9], vcc, s[8:9]
	v_lshl_add_u64 v[6:7], v[6:7], 0, s[54:55]
	v_lshl_add_u64 v[4:5], v[4:5], 0, s[54:55]
	;; [unrolled: 1-line block ×3, first 2 shown]
	s_waitcnt vmcnt(1)
	v_mul_f64 v[46:47], v[24:25], v[38:39]
	v_mul_f64 v[38:39], v[22:23], v[38:39]
	v_fma_f64 v[46:47], v[22:23], v[36:37], -v[46:47]
	v_fmac_f64_e32 v[38:39], v[24:25], v[36:37]
	s_waitcnt vmcnt(0)
	v_add_f64 v[36:37], v[46:47], -v[40:41]
	v_add_f64 v[40:41], v[38:39], -v[42:43]
	v_mul_f64 v[42:43], v[2:3], v[40:41]
	v_mul_f64 v[38:39], v[2:3], v[36:37]
	v_fma_f64 v[36:37], v[0:1], v[36:37], -v[42:43]
	v_fmac_f64_e32 v[38:39], v[0:1], v[40:41]
	global_store_dwordx4 v[44:45], v[36:39], off
	s_andn2_b64 exec, exec, s[8:9]
	s_cbranch_execnz .LBB7_204
.LBB7_205:                              ;   in Loop: Header=BB7_5 Depth=1
	s_or_b64 exec, exec, s[0:1]
.LBB7_206:                              ;   in Loop: Header=BB7_5 Depth=1
	s_and_saveexec_b64 s[0:1], s[10:11]
	s_cbranch_execz .LBB7_208
; %bb.207:                              ;   in Loop: Header=BB7_5 Depth=1
	s_add_i32 s8, s79, -1
	s_mul_i32 s8, s8, s24
	s_add_i32 s12, s16, -1
	s_ashr_i32 s9, s8, 31
	s_ashr_i32 s14, s16, 31
	s_add_u32 s8, s8, s16
	s_addc_u32 s9, s9, s14
	s_lshl_b64 s[8:9], s[8:9], 4
	s_add_u32 s8, s42, s8
	s_addc_u32 s9, s43, s9
	global_load_dwordx4 v[0:3], v11, s[8:9] offset:-16
	s_mul_i32 s8, s12, s73
	s_ashr_i32 s9, s8, 31
	s_lshl_b64 s[8:9], s[8:9], 4
	s_add_u32 s8, s28, s8
	s_addc_u32 s9, s29, s9
	s_ashr_i32 s13, s62, 31
	s_add_u32 s12, s62, s16
	s_addc_u32 s13, s13, s14
	s_lshl_b64 s[12:13], s[12:13], 4
	s_add_u32 s12, s42, s12
	s_addc_u32 s13, s43, s13
	s_mul_i32 s15, s16, s27
	s_waitcnt vmcnt(0)
	global_store_dwordx4 v11, v[0:3], s[8:9]
	global_load_dwordx4 v[0:3], v11, s[12:13] offset:-16
	s_ashr_i32 s9, s15, 31
	s_add_u32 s8, s16, s15
	s_addc_u32 s9, s14, s9
	s_lshl_b64 s[8:9], s[8:9], 4
	s_add_u32 s8, s28, s8
	s_addc_u32 s9, s29, s9
	s_add_i32 s12, s62, s16
	s_ashr_i32 s13, s12, 31
	s_lshl_b64 s[12:13], s[12:13], 4
	s_add_u32 s12, s42, s12
	s_addc_u32 s13, s43, s13
	s_waitcnt vmcnt(0)
	global_store_dwordx4 v11, v[0:3], s[8:9] offset:-16
	global_load_dwordx4 v[0:3], v11, s[12:13]
	s_add_i32 s8, s15, s16
	s_ashr_i32 s9, s8, 31
	s_lshl_b64 s[8:9], s[8:9], 4
	s_add_u32 s8, s28, s8
	s_addc_u32 s9, s29, s9
	s_waitcnt vmcnt(0)
	global_store_dwordx4 v11, v[0:3], s[8:9]
.LBB7_208:                              ;   in Loop: Header=BB7_5 Depth=1
	s_or_b64 exec, exec, s[0:1]
	s_mov_b64 s[8:9], 0
	s_barrier
.LBB7_209:                              ;   in Loop: Header=BB7_5 Depth=1
	s_mov_b64 s[0:1], 0
	s_mov_b32 s12, -2
	s_and_b64 vcc, exec, s[8:9]
	s_mov_b64 s[8:9], 0
	s_cbranch_vccz .LBB7_220
; %bb.210:                              ;   in Loop: Header=BB7_5 Depth=1
	s_add_i32 s8, s62, s16
	s_ashr_i32 s9, s8, 31
	s_lshl_b64 s[8:9], s[8:9], 4
	s_add_u32 s8, s42, s8
	s_addc_u32 s9, s43, s9
	global_load_dwordx4 v[0:3], v11, s[8:9]
	s_waitcnt vmcnt(0)
	v_cmp_ngt_f64_e64 s[12:13], |v[0:1]|, |v[2:3]|
	s_and_b64 vcc, exec, s[12:13]
	s_cbranch_vccz .LBB7_212
; %bb.211:                              ;   in Loop: Header=BB7_5 Depth=1
	v_div_scale_f64 v[4:5], s[12:13], v[2:3], v[2:3], v[0:1]
	v_rcp_f64_e32 v[6:7], v[4:5]
	v_div_scale_f64 v[18:19], vcc, v[0:1], v[2:3], v[0:1]
	v_fma_f64 v[20:21], -v[4:5], v[6:7], 1.0
	v_fmac_f64_e32 v[6:7], v[6:7], v[20:21]
	v_fma_f64 v[20:21], -v[4:5], v[6:7], 1.0
	v_fmac_f64_e32 v[6:7], v[6:7], v[20:21]
	v_mul_f64 v[20:21], v[18:19], v[6:7]
	v_fma_f64 v[4:5], -v[4:5], v[20:21], v[18:19]
	v_div_fmas_f64 v[4:5], v[4:5], v[6:7], v[20:21]
	v_div_fixup_f64 v[6:7], v[4:5], v[2:3], v[0:1]
	v_fma_f64 v[4:5], v[0:1], v[6:7], v[2:3]
	v_div_scale_f64 v[18:19], s[12:13], v[4:5], v[4:5], 1.0
	v_rcp_f64_e32 v[20:21], v[18:19]
	s_nop 0
	v_fma_f64 v[22:23], -v[18:19], v[20:21], 1.0
	v_fmac_f64_e32 v[20:21], v[20:21], v[22:23]
	v_fma_f64 v[22:23], -v[18:19], v[20:21], 1.0
	v_fmac_f64_e32 v[20:21], v[20:21], v[22:23]
	v_div_scale_f64 v[22:23], vcc, 1.0, v[4:5], 1.0
	v_mul_f64 v[24:25], v[22:23], v[20:21]
	v_fma_f64 v[18:19], -v[18:19], v[24:25], v[22:23]
	s_nop 1
	v_div_fmas_f64 v[18:19], v[18:19], v[20:21], v[24:25]
	v_div_fixup_f64 v[18:19], v[18:19], v[4:5], 1.0
	v_add_f64 v[4:5], v[6:7], 0
	v_fma_f64 v[6:7], v[6:7], 0, -1.0
	v_mul_f64 v[4:5], v[4:5], v[18:19]
	v_mul_f64 v[6:7], v[6:7], v[18:19]
	s_cbranch_execz .LBB7_213
	s_branch .LBB7_214
.LBB7_212:                              ;   in Loop: Header=BB7_5 Depth=1
                                        ; implicit-def: $vgpr4_vgpr5
                                        ; implicit-def: $vgpr6_vgpr7
.LBB7_213:                              ;   in Loop: Header=BB7_5 Depth=1
	v_div_scale_f64 v[4:5], s[12:13], v[0:1], v[0:1], v[2:3]
	v_rcp_f64_e32 v[6:7], v[4:5]
	v_div_scale_f64 v[18:19], vcc, v[2:3], v[0:1], v[2:3]
	v_fma_f64 v[20:21], -v[4:5], v[6:7], 1.0
	v_fmac_f64_e32 v[6:7], v[6:7], v[20:21]
	v_fma_f64 v[20:21], -v[4:5], v[6:7], 1.0
	v_fmac_f64_e32 v[6:7], v[6:7], v[20:21]
	v_mul_f64 v[20:21], v[18:19], v[6:7]
	v_fma_f64 v[4:5], -v[4:5], v[20:21], v[18:19]
	v_div_fmas_f64 v[4:5], v[4:5], v[6:7], v[20:21]
	v_div_fixup_f64 v[6:7], v[4:5], v[0:1], v[2:3]
	v_fmac_f64_e32 v[0:1], v[2:3], v[6:7]
	v_div_scale_f64 v[2:3], s[12:13], v[0:1], v[0:1], 1.0
	v_rcp_f64_e32 v[4:5], v[2:3]
	s_nop 0
	v_fma_f64 v[18:19], -v[2:3], v[4:5], 1.0
	v_fmac_f64_e32 v[4:5], v[4:5], v[18:19]
	v_fma_f64 v[18:19], -v[2:3], v[4:5], 1.0
	v_fmac_f64_e32 v[4:5], v[4:5], v[18:19]
	v_div_scale_f64 v[18:19], vcc, 1.0, v[0:1], 1.0
	v_mul_f64 v[20:21], v[18:19], v[4:5]
	v_fma_f64 v[2:3], -v[2:3], v[20:21], v[18:19]
	s_nop 1
	v_div_fmas_f64 v[2:3], v[2:3], v[4:5], v[20:21]
	v_div_fixup_f64 v[0:1], v[2:3], v[0:1], 1.0
	v_fma_f64 v[2:3], v[6:7], 0, 1.0
	v_mul_f64 v[4:5], v[2:3], v[0:1]
	v_add_f64 v[2:3], -v[6:7], 0
	v_mul_f64 v[6:7], v[2:3], v[0:1]
.LBB7_214:                              ;   in Loop: Header=BB7_5 Depth=1
	s_and_saveexec_b64 s[12:13], s[10:11]
	s_cbranch_execnz .LBB7_216
; %bb.215:                              ;   in Loop: Header=BB7_5 Depth=1
	s_or_b64 exec, exec, s[12:13]
	s_and_saveexec_b64 s[8:9], s[6:7]
	s_cbranch_execnz .LBB7_217
	s_branch .LBB7_219
.LBB7_216:                              ;   in Loop: Header=BB7_5 Depth=1
	global_load_dwordx4 v[0:3], v11, s[8:9]
	s_mul_i32 s8, s16, s73
	s_ashr_i32 s9, s8, 31
	s_lshl_b64 s[8:9], s[8:9], 4
	s_add_u32 s8, s28, s8
	s_addc_u32 s9, s29, s9
	s_waitcnt vmcnt(0)
	global_store_dwordx4 v11, v[0:3], s[8:9]
	s_or_b64 exec, exec, s[12:13]
	s_and_saveexec_b64 s[8:9], s[6:7]
	s_cbranch_execz .LBB7_219
.LBB7_217:                              ;   in Loop: Header=BB7_5 Depth=1
	s_mul_i32 s6, s16, s27
	v_add_u32_e32 v0, s62, v28
	v_add_u32_e32 v2, s6, v28
	v_ashrrev_i32_e32 v1, 31, v0
	v_ashrrev_i32_e32 v3, 31, v2
	v_lshl_add_u64 v[0:1], v[0:1], 4, s[48:49]
	v_lshl_add_u64 v[2:3], v[2:3], 4, s[52:53]
	s_mov_b64 s[6:7], 0
	v_mov_b32_e32 v10, v28
.LBB7_218:                              ;   Parent Loop BB7_5 Depth=1
                                        ; =>  This Inner Loop Header: Depth=2
	global_load_dwordx4 v[18:21], v[0:1], off offset:-8
	v_add_u32_e32 v10, 0x100, v10
	v_cmp_le_i32_e32 vcc, s16, v10
	v_lshl_add_u64 v[0:1], v[0:1], 0, s[54:55]
	s_or_b64 s[6:7], vcc, s[6:7]
	s_waitcnt vmcnt(0)
	v_mul_f64 v[24:25], v[6:7], v[20:21]
	v_mul_f64 v[22:23], v[4:5], v[20:21]
	v_fma_f64 v[20:21], v[4:5], v[18:19], -v[24:25]
	v_fmac_f64_e32 v[22:23], v[6:7], v[18:19]
	global_store_dwordx4 v[2:3], v[20:23], off offset:-8
	v_lshl_add_u64 v[2:3], v[2:3], 0, s[54:55]
	s_andn2_b64 exec, exec, s[6:7]
	s_cbranch_execnz .LBB7_218
.LBB7_219:                              ;   in Loop: Header=BB7_5 Depth=1
	s_or_b64 exec, exec, s[8:9]
	s_barrier
	s_mov_b64 s[8:9], -1
	s_mov_b32 s12, -1
.LBB7_220:                              ;   in Loop: Header=BB7_5 Depth=1
	s_and_b64 vcc, exec, s[0:1]
	s_cbranch_vccz .LBB7_224
; %bb.221:                              ;   in Loop: Header=BB7_5 Depth=1
	ds_read_b32 v0, v11 offset:3100
	s_waitcnt lgkmcnt(0)
	v_readfirstlane_b32 s0, v0
	s_cmp_eq_u32 s0, 0
	s_cselect_b64 s[0:1], -1, 0
	s_and_b64 s[6:7], s[10:11], s[0:1]
	s_and_saveexec_b64 s[0:1], s[6:7]
; %bb.222:                              ;   in Loop: Header=BB7_5 Depth=1
	s_add_i32 s6, s16, 1
	v_mov_b32_e32 v0, s6
	ds_write_b32 v11, v0 offset:3100
; %bb.223:                              ;   in Loop: Header=BB7_5 Depth=1
	s_or_b64 exec, exec, s[0:1]
	s_mov_b32 s12, -1
	s_mov_b64 s[8:9], -1
	s_mov_b32 s63, s16
.LBB7_224:                              ;   in Loop: Header=BB7_5 Depth=1
	s_and_saveexec_b64 s[0:1], s[10:11]
	s_cbranch_execz .LBB7_229
; %bb.225:                              ;   in Loop: Header=BB7_5 Depth=1
	s_mov_b32 s17, s77
	s_xor_b64 s[14:15], s[8:9], -1
	s_lshl_b64 s[6:7], s[16:17], 2
	s_add_u32 s6, s26, s6
	s_addc_u32 s7, s33, s7
	s_mov_b64 s[8:9], -1
	s_and_b64 vcc, exec, s[14:15]
	s_cbranch_vccz .LBB7_227
; %bb.226:                              ;   in Loop: Header=BB7_5 Depth=1
	s_not_b32 s8, s63
	v_mov_b32_e32 v0, s8
	v_mov_b32_e32 v1, s8
	global_store_dwordx2 v11, v[0:1], s[6:7] offset:-4
	s_mov_b64 s[8:9], 0
.LBB7_227:                              ;   in Loop: Header=BB7_5 Depth=1
	s_andn2_b64 vcc, exec, s[8:9]
	s_cbranch_vccnz .LBB7_229
; %bb.228:                              ;   in Loop: Header=BB7_5 Depth=1
	s_add_i32 s8, s63, 1
	v_mov_b32_e32 v0, s8
	global_store_dword v11, v0, s[6:7]
.LBB7_229:                              ;   in Loop: Header=BB7_5 Depth=1
	s_or_b64 exec, exec, s[0:1]
	s_add_i32 s16, s12, s16
	s_add_i32 s79, s16, s71
	s_cmp_lt_i32 s16, 0
	s_cselect_b64 s[0:1], -1, 0
	s_and_b64 vcc, exec, s[0:1]
	s_cbranch_vccz .LBB7_5
.LBB7_230:
	s_add_i32 s6, s79, 1
.LBB7_231:
	s_and_saveexec_b64 s[0:1], s[10:11]
	s_cbranch_execz .LBB7_233
; %bb.232:
	s_lshl_b64 s[2:3], s[40:41], 2
	s_add_u32 s4, s20, s2
	s_addc_u32 s5, s21, s3
	v_mov_b32_e32 v0, 0
	s_add_u32 s2, s18, s2
	ds_read_b32 v1, v0 offset:3100
	s_addc_u32 s3, s19, s3
	s_not_b32 s7, s16
	s_add_i32 s7, s24, s7
	v_mov_b32_e32 v2, s7
	global_store_dword v0, v2, s[4:5]
	s_waitcnt lgkmcnt(0)
	global_store_dword v0, v1, s[2:3]
.LBB7_233:
	s_or_b64 exec, exec, s[0:1]
	s_abs_i32 s0, s25
	v_cvt_f32_u32_e32 v0, s0
	s_sub_i32 s3, 0, s0
	s_abs_i32 s2, s16
	s_ashr_i32 s1, s16, 31
	v_rcp_iflag_f32_e32 v0, v0
	s_mov_b32 s5, 0
	v_mul_f32_e32 v0, 0x4f7ffffe, v0
	v_cvt_u32_f32_e32 v0, v0
	s_nop 0
	v_readfirstlane_b32 s4, v0
	s_mul_i32 s3, s3, s4
	s_mul_hi_u32 s3, s4, s3
	s_add_i32 s4, s4, s3
	s_mul_hi_u32 s3, s2, s4
	s_mul_i32 s3, s3, s0
	s_sub_i32 s2, s2, s3
	s_sub_i32 s3, s2, s0
	s_cmp_ge_u32 s2, s0
	s_cselect_b32 s2, s3, s2
	s_sub_i32 s3, s2, s0
	s_cmp_ge_u32 s2, s0
	s_cselect_b32 s0, s3, s2
	s_xor_b32 s0, s0, s1
	s_sub_i32 s0, s1, s0
	s_add_i32 s4, s16, s0
	s_add_i32 s2, s16, 1
	s_cmp_lt_i32 s4, 0
	s_cbranch_scc1 .LBB7_253
; %bb.234:
	s_not_b32 s0, s16
	s_add_i32 s3, s24, s0
	s_mul_i32 s0, s2, s27
	s_mul_i32 s10, s6, s24
	s_ashr_i32 s1, s0, 31
	s_ashr_i32 s11, s10, 31
	s_cmp_gt_i32 s3, 0
	s_cselect_b64 s[12:13], -1, 0
	s_lshl_b64 s[0:1], s[0:1], 4
	s_add_u32 s6, s28, s0
	s_addc_u32 s7, s29, s1
	s_add_u32 s8, s36, s38
	s_addc_u32 s9, s37, s39
	s_add_u32 s0, s8, s0
	s_addc_u32 s1, s9, s1
	s_add_u32 s0, s22, s0
	v_mov_b32_e32 v9, 0
	s_addc_u32 s1, s23, s1
	v_lshl_add_u64 v[0:1], s[0:1], 0, v[8:9]
	s_ashr_i32 s1, s27, 31
	s_mov_b32 s0, s27
	s_lshl_b64 s[8:9], s[0:1], 4
	s_lshl_b64 s[0:1], s[34:35], 4
	;; [unrolled: 1-line block ×3, first 2 shown]
	s_add_u32 s0, s0, s10
	s_addc_u32 s1, s1, s11
	s_add_u32 s0, s30, s0
	s_addc_u32 s1, s31, s1
	;; [unrolled: 2-line block ×3, first 2 shown]
	s_ashr_i32 s1, s24, 31
	s_mov_b32 s0, s24
	v_cndmask_b32_e64 v2, 0, 1, s[12:13]
	s_mov_b32 s12, 0
	v_lshl_add_u64 v[0:1], v[0:1], 0, 8
	s_lshl_b64 s[10:11], s[0:1], 4
	s_brev_b32 s13, 1
	s_mov_b64 s[14:15], 0x1000
	v_cmp_ne_u32_e64 s[0:1], 1, v2
	s_branch .LBB7_236
.LBB7_235:                              ;   in Loop: Header=BB7_236 Depth=1
	s_or_b64 exec, exec, s[18:19]
	s_sub_i32 s4, s4, s25
	s_cmp_gt_i32 s4, -1
	s_cbranch_scc0 .LBB7_253
.LBB7_236:                              ; =>This Loop Header: Depth=1
                                        ;     Child Loop BB7_239 Depth 2
                                        ;       Child Loop BB7_243 Depth 3
                                        ;         Child Loop BB7_245 Depth 4
                                        ;     Child Loop BB7_250 Depth 2
                                        ;       Child Loop BB7_252 Depth 3
	s_lshl_b64 s[18:19], s[4:5], 4
	s_add_u32 s16, s36, s18
	s_addc_u32 s17, s37, s19
	s_sub_i32 s20, s2, s4
	s_min_i32 s38, s20, s25
	s_cmp_lt_i32 s38, 1
	s_cbranch_scc1 .LBB7_246
; %bb.237:                              ;   in Loop: Header=BB7_236 Depth=1
	s_add_i32 s39, s38, s4
	s_add_u32 s40, s28, s18
	v_lshl_add_u64 v[2:3], v[0:1], 0, s[18:19]
	s_addc_u32 s41, s29, s19
	s_mov_b64 s[18:19], s[16:17]
	s_mov_b32 s42, s4
	s_branch .LBB7_239
.LBB7_238:                              ;   in Loop: Header=BB7_239 Depth=2
	s_or_b64 exec, exec, s[20:21]
	s_add_i32 s42, s42, 1
	s_add_u32 s18, s18, 16
	s_addc_u32 s19, s19, 0
	s_cmp_lt_i32 s42, s39
	s_cbranch_scc0 .LBB7_246
.LBB7_239:                              ;   Parent Loop BB7_236 Depth=1
                                        ; =>  This Loop Header: Depth=2
                                        ;       Child Loop BB7_243 Depth 3
                                        ;         Child Loop BB7_245 Depth 4
	s_sub_i32 s43, s42, s4
	v_cmp_ge_i32_e32 vcc, s43, v28
	s_and_saveexec_b64 s[20:21], vcc
	s_cbranch_execz .LBB7_238
; %bb.240:                              ;   in Loop: Header=BB7_239 Depth=2
	s_mul_i32 s22, s42, s27
	s_ashr_i32 s23, s22, 31
	s_lshl_b64 s[22:23], s[22:23], 4
	s_add_u32 s22, s40, s22
	s_addc_u32 s23, s41, s23
	s_mov_b64 s[30:31], 0
	v_mov_b64_e32 v[4:5], v[2:3]
	v_mov_b32_e32 v8, v28
	s_branch .LBB7_243
.LBB7_241:                              ;   in Loop: Header=BB7_243 Depth=3
	v_mov_b64_e32 v[10:11], 0
.LBB7_242:                              ;   in Loop: Header=BB7_243 Depth=3
	v_lshl_add_u64 v[16:17], v[8:9], 4, s[22:23]
	global_load_dwordx4 v[12:15], v[16:17], off
	v_fma_f64 v[18:19], v[6:7], s[12:13], -v[10:11]
	v_fma_f64 v[6:7], v[10:11], 0, -v[6:7]
	v_add_u32_e32 v8, 0x100, v8
	v_cmp_lt_i32_e32 vcc, s43, v8
	s_or_b64 s[30:31], vcc, s[30:31]
	v_lshl_add_u64 v[4:5], v[4:5], 0, s[14:15]
	s_waitcnt vmcnt(0)
	v_mov_b64_e32 v[10:11], v[12:13]
	v_fmac_f64_e32 v[10:11], 0x80000000, v[14:15]
	v_fmac_f64_e32 v[14:15], 0, v[12:13]
	v_add_f64 v[10:11], v[18:19], v[10:11]
	v_add_f64 v[12:13], v[6:7], v[14:15]
	global_store_dwordx4 v[16:17], v[10:13], off
	s_andn2_b64 exec, exec, s[30:31]
	s_cbranch_execz .LBB7_238
.LBB7_243:                              ;   Parent Loop BB7_236 Depth=1
                                        ;     Parent Loop BB7_239 Depth=2
                                        ; =>    This Loop Header: Depth=3
                                        ;         Child Loop BB7_245 Depth 4
	v_mov_b64_e32 v[6:7], 0
	s_and_b64 vcc, exec, s[0:1]
	s_cbranch_vccnz .LBB7_241
; %bb.244:                              ;   in Loop: Header=BB7_243 Depth=3
	s_mov_b64 s[34:35], s[18:19]
	v_mov_b64_e32 v[12:13], v[4:5]
	s_mov_b32 s44, s3
	v_mov_b64_e32 v[10:11], 0
.LBB7_245:                              ;   Parent Loop BB7_236 Depth=1
                                        ;     Parent Loop BB7_239 Depth=2
                                        ;       Parent Loop BB7_243 Depth=3
                                        ; =>      This Inner Loop Header: Depth=4
	global_load_dwordx4 v[14:17], v9, s[34:35] offset:-8
	global_load_dwordx4 v[18:21], v[12:13], off offset:-8
	s_add_i32 s44, s44, -1
	s_add_u32 s34, s34, s10
	s_addc_u32 s35, s35, s11
	v_lshl_add_u64 v[12:13], v[12:13], 0, s[8:9]
	s_cmp_eq_u32 s44, 0
	s_waitcnt vmcnt(0)
	v_mul_f64 v[22:23], v[16:17], v[20:21]
	v_mul_f64 v[20:21], v[14:15], v[20:21]
	v_fma_f64 v[14:15], v[14:15], v[18:19], -v[22:23]
	v_fmac_f64_e32 v[20:21], v[16:17], v[18:19]
	v_add_f64 v[10:11], v[10:11], v[14:15]
	v_add_f64 v[6:7], v[6:7], v[20:21]
	s_cbranch_scc0 .LBB7_245
	s_branch .LBB7_242
.LBB7_246:                              ;   in Loop: Header=BB7_236 Depth=1
	s_mul_i32 s30, s38, s4
	v_cmp_gt_i32_e32 vcc, s30, v28
	s_and_saveexec_b64 s[18:19], vcc
	s_cbranch_execz .LBB7_235
; %bb.247:                              ;   in Loop: Header=BB7_236 Depth=1
	v_cvt_f32_u32_e32 v2, s4
	s_mul_i32 s22, s4, s27
	s_ashr_i32 s23, s22, 31
	s_lshl_b64 s[22:23], s[22:23], 4
	v_rcp_iflag_f32_e32 v2, v2
	s_add_u32 s22, s28, s22
	s_addc_u32 s23, s29, s23
	s_sub_i32 s31, 0, s4
	v_mul_f32_e32 v2, 0x4f7ffffe, v2
	v_cvt_u32_f32_e32 v2, v2
	s_mov_b64 s[20:21], 0
	v_mov_b32_e32 v8, v28
	v_mul_lo_u32 v3, s31, v2
	v_mul_hi_u32 v3, v2, v3
	v_add_u32_e32 v5, v2, v3
	s_branch .LBB7_250
.LBB7_248:                              ;   in Loop: Header=BB7_250 Depth=2
	v_mov_b64_e32 v[6:7], 0
	v_mov_b64_e32 v[10:11], 0
.LBB7_249:                              ;   in Loop: Header=BB7_250 Depth=2
	v_mad_u64_u32 v[2:3], s[34:35], v2, s27, v[4:5]
	v_ashrrev_i32_e32 v3, 31, v2
	v_lshl_add_u64 v[2:3], v[2:3], 4, s[22:23]
	global_load_dwordx4 v[12:15], v[2:3], off
	v_fma_f64 v[16:17], v[6:7], s[12:13], -v[10:11]
	v_fma_f64 v[6:7], v[10:11], 0, -v[6:7]
	v_add_u32_e32 v8, 0x100, v8
	v_cmp_le_i32_e32 vcc, s30, v8
	s_or_b64 s[20:21], vcc, s[20:21]
	s_waitcnt vmcnt(0)
	v_mov_b64_e32 v[10:11], v[12:13]
	v_fmac_f64_e32 v[10:11], 0x80000000, v[14:15]
	v_fmac_f64_e32 v[14:15], 0, v[12:13]
	v_add_f64 v[10:11], v[16:17], v[10:11]
	v_add_f64 v[12:13], v[6:7], v[14:15]
	global_store_dwordx4 v[2:3], v[10:13], off
	s_andn2_b64 exec, exec, s[20:21]
	s_cbranch_execz .LBB7_235
.LBB7_250:                              ;   Parent Loop BB7_236 Depth=1
                                        ; =>  This Loop Header: Depth=2
                                        ;       Child Loop BB7_252 Depth 3
	v_mul_hi_u32 v2, v8, v5
	v_mul_lo_u32 v3, v2, s4
	v_sub_u32_e32 v3, v8, v3
	v_add_u32_e32 v4, 1, v2
	v_cmp_le_u32_e32 vcc, s4, v3
	s_nop 1
	v_cndmask_b32_e32 v2, v2, v4, vcc
	v_subrev_u32_e32 v4, s4, v3
	v_cndmask_b32_e32 v3, v3, v4, vcc
	v_add_u32_e32 v4, 1, v2
	v_cmp_le_u32_e32 vcc, s4, v3
	s_nop 1
	v_cndmask_b32_e32 v2, v2, v4, vcc
	v_mul_lo_u32 v3, v2, s4
	s_and_b64 vcc, exec, s[0:1]
	v_sub_u32_e32 v4, v8, v3
	s_cbranch_vccnz .LBB7_248
; %bb.251:                              ;   in Loop: Header=BB7_250 Depth=2
	v_ashrrev_i32_e32 v3, 31, v2
	v_lshl_add_u64 v[12:13], v[2:3], 4, s[16:17]
	v_mov_b64_e32 v[6:7], 0
	v_mov_b32_e32 v14, v4
	s_mov_b32 s31, s3
	v_mov_b64_e32 v[10:11], 0
.LBB7_252:                              ;   Parent Loop BB7_236 Depth=1
                                        ;     Parent Loop BB7_250 Depth=2
                                        ; =>    This Inner Loop Header: Depth=3
	v_ashrrev_i32_e32 v15, 31, v14
	v_lshl_add_u64 v[20:21], v[14:15], 4, s[6:7]
	global_load_dwordx4 v[16:19], v[12:13], off offset:-8
	s_add_i32 s31, s31, -1
	global_load_dwordx4 v[20:23], v[20:21], off
	v_lshl_add_u64 v[12:13], v[12:13], 0, s[10:11]
	v_add_u32_e32 v14, s27, v14
	s_cmp_eq_u32 s31, 0
	s_waitcnt vmcnt(0)
	v_mul_f64 v[24:25], v[18:19], v[22:23]
	v_mul_f64 v[22:23], v[16:17], v[22:23]
	v_fma_f64 v[16:17], v[16:17], v[20:21], -v[24:25]
	v_fmac_f64_e32 v[22:23], v[18:19], v[20:21]
	v_add_f64 v[10:11], v[10:11], v[16:17]
	v_add_f64 v[6:7], v[6:7], v[22:23]
	s_cbranch_scc0 .LBB7_252
	s_branch .LBB7_249
.LBB7_253:
	s_cmp_ge_i32 s2, s70
	s_waitcnt lgkmcnt(0)
	s_barrier
	s_cbranch_scc1 .LBB7_261
; %bb.254:
	v_mov_b32_e32 v0, 0x2c20
	v_lshl_add_u32 v0, v30, 4, v0
	s_lshl_b32 s6, s27, 8
	v_mov_b32_e32 v1, 0
	s_branch .LBB7_257
.LBB7_255:                              ;   in Loop: Header=BB7_257 Depth=1
	s_or_b64 exec, exec, s[0:1]
	s_waitcnt lgkmcnt(0)
	s_barrier
.LBB7_256:                              ;   in Loop: Header=BB7_257 Depth=1
	s_cmp_lt_i32 s3, s70
	s_mov_b32 s2, s3
	s_cbranch_scc0 .LBB7_261
.LBB7_257:                              ; =>This Loop Header: Depth=1
                                        ;     Child Loop BB7_260 Depth 2
	s_ashr_i32 s3, s2, 31
	s_lshl_b64 s[0:1], s[2:3], 2
	s_add_u32 s0, s26, s0
	s_addc_u32 s1, s33, s1
	global_load_dword v2, v1, s[0:1]
	s_waitcnt vmcnt(0)
	v_readfirstlane_b32 s0, v2
	s_not_b32 s1, s0
	s_add_i32 s3, s0, -1
	s_cmp_lt_i32 s0, 0
	s_cselect_b32 s7, s1, s3
	s_lshr_b32 s0, s0, 31
	s_add_i32 s4, s2, s0
	s_add_i32 s3, s4, 1
	s_cmp_eq_u32 s7, s2
	s_cselect_b64 s[0:1], -1, 0
	s_cmp_le_i32 s24, s3
	s_cselect_b64 s[8:9], -1, 0
	s_or_b64 s[0:1], s[0:1], s[8:9]
	s_and_b64 vcc, exec, s[0:1]
	s_cbranch_vccnz .LBB7_256
; %bb.258:                              ;   in Loop: Header=BB7_257 Depth=1
	s_sub_i32 s8, s24, s3
	v_cmp_gt_i32_e32 vcc, s8, v28
	s_and_saveexec_b64 s[0:1], vcc
	s_cbranch_execz .LBB7_255
; %bb.259:                              ;   in Loop: Header=BB7_257 Depth=1
	v_add_u32_e32 v2, s4, v29
	v_mul_lo_u32 v2, s27, v2
	s_mov_b64 s[4:5], 0
	v_mov_b32_e32 v3, v28
.LBB7_260:                              ;   Parent Loop BB7_257 Depth=1
                                        ; =>  This Inner Loop Header: Depth=2
	v_add_u32_e32 v4, s7, v2
	v_add_u32_e32 v6, s2, v2
	v_ashrrev_i32_e32 v5, 31, v4
	v_ashrrev_i32_e32 v7, 31, v6
	v_lshl_add_u64 v[12:13], v[4:5], 4, s[28:29]
	v_lshl_add_u64 v[14:15], v[6:7], 4, s[28:29]
	global_load_dwordx4 v[4:7], v[12:13], off
	global_load_dwordx4 v[8:11], v[14:15], off
	v_add_u32_e32 v3, 0x100, v3
	v_cmp_le_i32_e32 vcc, s8, v3
	v_add_u32_e32 v2, s6, v2
	s_or_b64 s[4:5], vcc, s[4:5]
	s_waitcnt vmcnt(1)
	ds_write2_b64 v0, v[4:5], v[6:7] offset1:1
	s_waitcnt vmcnt(0)
	global_store_dwordx4 v[12:13], v[8:11], off
	global_store_dwordx4 v[14:15], v[4:7], off
	s_andn2_b64 exec, exec, s[4:5]
	s_cbranch_execnz .LBB7_260
	s_branch .LBB7_255
.LBB7_261:
	s_endpgm
	.section	.rodata,"a",@progbits
	.p2align	6, 0x0
	.amdhsa_kernel _ZN9rocsolver6v33100L18lasyf_kernel_upperI19rocblas_complex_numIdEPS3_EEviiPiT0_iilS5_lS5_PT_
		.amdhsa_group_segment_fixed_size 15392
		.amdhsa_private_segment_fixed_size 0
		.amdhsa_kernarg_size 72
		.amdhsa_user_sgpr_count 4
		.amdhsa_user_sgpr_dispatch_ptr 1
		.amdhsa_user_sgpr_queue_ptr 0
		.amdhsa_user_sgpr_kernarg_segment_ptr 1
		.amdhsa_user_sgpr_dispatch_id 0
		.amdhsa_user_sgpr_kernarg_preload_length 0
		.amdhsa_user_sgpr_kernarg_preload_offset 0
		.amdhsa_user_sgpr_private_segment_size 0
		.amdhsa_uses_dynamic_stack 0
		.amdhsa_enable_private_segment 0
		.amdhsa_system_sgpr_workgroup_id_x 1
		.amdhsa_system_sgpr_workgroup_id_y 1
		.amdhsa_system_sgpr_workgroup_id_z 0
		.amdhsa_system_sgpr_workgroup_info 0
		.amdhsa_system_vgpr_workitem_id 2
		.amdhsa_next_free_vgpr 48
		.amdhsa_next_free_sgpr 81
		.amdhsa_accum_offset 48
		.amdhsa_reserve_vcc 1
		.amdhsa_float_round_mode_32 0
		.amdhsa_float_round_mode_16_64 0
		.amdhsa_float_denorm_mode_32 3
		.amdhsa_float_denorm_mode_16_64 3
		.amdhsa_dx10_clamp 1
		.amdhsa_ieee_mode 1
		.amdhsa_fp16_overflow 0
		.amdhsa_tg_split 0
		.amdhsa_exception_fp_ieee_invalid_op 0
		.amdhsa_exception_fp_denorm_src 0
		.amdhsa_exception_fp_ieee_div_zero 0
		.amdhsa_exception_fp_ieee_overflow 0
		.amdhsa_exception_fp_ieee_underflow 0
		.amdhsa_exception_fp_ieee_inexact 0
		.amdhsa_exception_int_div_zero 0
	.end_amdhsa_kernel
	.section	.text._ZN9rocsolver6v33100L18lasyf_kernel_upperI19rocblas_complex_numIdEPS3_EEviiPiT0_iilS5_lS5_PT_,"axG",@progbits,_ZN9rocsolver6v33100L18lasyf_kernel_upperI19rocblas_complex_numIdEPS3_EEviiPiT0_iilS5_lS5_PT_,comdat
.Lfunc_end7:
	.size	_ZN9rocsolver6v33100L18lasyf_kernel_upperI19rocblas_complex_numIdEPS3_EEviiPiT0_iilS5_lS5_PT_, .Lfunc_end7-_ZN9rocsolver6v33100L18lasyf_kernel_upperI19rocblas_complex_numIdEPS3_EEviiPiT0_iilS5_lS5_PT_
                                        ; -- End function
	.set _ZN9rocsolver6v33100L18lasyf_kernel_upperI19rocblas_complex_numIdEPS3_EEviiPiT0_iilS5_lS5_PT_.num_vgpr, 48
	.set _ZN9rocsolver6v33100L18lasyf_kernel_upperI19rocblas_complex_numIdEPS3_EEviiPiT0_iilS5_lS5_PT_.num_agpr, 0
	.set _ZN9rocsolver6v33100L18lasyf_kernel_upperI19rocblas_complex_numIdEPS3_EEviiPiT0_iilS5_lS5_PT_.numbered_sgpr, 81
	.set _ZN9rocsolver6v33100L18lasyf_kernel_upperI19rocblas_complex_numIdEPS3_EEviiPiT0_iilS5_lS5_PT_.num_named_barrier, 0
	.set _ZN9rocsolver6v33100L18lasyf_kernel_upperI19rocblas_complex_numIdEPS3_EEviiPiT0_iilS5_lS5_PT_.private_seg_size, 0
	.set _ZN9rocsolver6v33100L18lasyf_kernel_upperI19rocblas_complex_numIdEPS3_EEviiPiT0_iilS5_lS5_PT_.uses_vcc, 1
	.set _ZN9rocsolver6v33100L18lasyf_kernel_upperI19rocblas_complex_numIdEPS3_EEviiPiT0_iilS5_lS5_PT_.uses_flat_scratch, 0
	.set _ZN9rocsolver6v33100L18lasyf_kernel_upperI19rocblas_complex_numIdEPS3_EEviiPiT0_iilS5_lS5_PT_.has_dyn_sized_stack, 0
	.set _ZN9rocsolver6v33100L18lasyf_kernel_upperI19rocblas_complex_numIdEPS3_EEviiPiT0_iilS5_lS5_PT_.has_recursion, 0
	.set _ZN9rocsolver6v33100L18lasyf_kernel_upperI19rocblas_complex_numIdEPS3_EEviiPiT0_iilS5_lS5_PT_.has_indirect_call, 0
	.section	.AMDGPU.csdata,"",@progbits
; Kernel info:
; codeLenInByte = 11240
; TotalNumSgprs: 87
; NumVgprs: 48
; NumAgprs: 0
; TotalNumVgprs: 48
; ScratchSize: 0
; MemoryBound: 0
; FloatMode: 240
; IeeeMode: 1
; LDSByteSize: 15392 bytes/workgroup (compile time only)
; SGPRBlocks: 10
; VGPRBlocks: 5
; NumSGPRsForWavesPerEU: 87
; NumVGPRsForWavesPerEU: 48
; AccumOffset: 48
; Occupancy: 8
; WaveLimiterHint : 1
; COMPUTE_PGM_RSRC2:SCRATCH_EN: 0
; COMPUTE_PGM_RSRC2:USER_SGPR: 4
; COMPUTE_PGM_RSRC2:TRAP_HANDLER: 0
; COMPUTE_PGM_RSRC2:TGID_X_EN: 1
; COMPUTE_PGM_RSRC2:TGID_Y_EN: 1
; COMPUTE_PGM_RSRC2:TGID_Z_EN: 0
; COMPUTE_PGM_RSRC2:TIDIG_COMP_CNT: 2
; COMPUTE_PGM_RSRC3_GFX90A:ACCUM_OFFSET: 11
; COMPUTE_PGM_RSRC3_GFX90A:TG_SPLIT: 0
	.section	.text._ZN9rocsolver6v33100L18lasyf_kernel_lowerI19rocblas_complex_numIdEPS3_EEviiPiT0_iilS5_lS5_PT_,"axG",@progbits,_ZN9rocsolver6v33100L18lasyf_kernel_lowerI19rocblas_complex_numIdEPS3_EEviiPiT0_iilS5_lS5_PT_,comdat
	.globl	_ZN9rocsolver6v33100L18lasyf_kernel_lowerI19rocblas_complex_numIdEPS3_EEviiPiT0_iilS5_lS5_PT_ ; -- Begin function _ZN9rocsolver6v33100L18lasyf_kernel_lowerI19rocblas_complex_numIdEPS3_EEviiPiT0_iilS5_lS5_PT_
	.p2align	8
	.type	_ZN9rocsolver6v33100L18lasyf_kernel_lowerI19rocblas_complex_numIdEPS3_EEviiPiT0_iilS5_lS5_PT_,@function
_ZN9rocsolver6v33100L18lasyf_kernel_lowerI19rocblas_complex_numIdEPS3_EEviiPiT0_iilS5_lS5_PT_: ; @_ZN9rocsolver6v33100L18lasyf_kernel_lowerI19rocblas_complex_numIdEPS3_EEviiPiT0_iilS5_lS5_PT_
; %bb.0:
	v_and_b32_e32 v8, 0x3ff, v0
	s_mov_b32 s36, s5
	v_cmp_eq_u32_e64 s[10:11], 0, v8
	s_and_saveexec_b64 s[4:5], s[10:11]
; %bb.1:
	v_mov_b32_e32 v1, 0
	ds_write_b32 v1, v1 offset:3100
; %bb.2:
	s_or_b64 exec, exec, s[4:5]
	s_load_dwordx2 s[4:5], s[0:1], 0x4
	s_load_dwordx2 s[28:29], s[2:3], 0x0
	s_load_dwordx4 s[20:23], s[2:3], 0x8
	s_load_dwordx2 s[26:27], s[2:3], 0x18
	s_load_dwordx8 s[12:19], s[2:3], 0x20
	s_load_dwordx2 s[34:35], s[2:3], 0x40
	s_ashr_i32 s37, s36, 31
	s_waitcnt lgkmcnt(0)
	s_lshr_b32 s0, s4, 16
	s_mul_i32 s0, s0, s5
	s_mul_hi_u32 s2, s12, s36
	s_mul_i32 s3, s12, s37
	s_add_i32 s2, s2, s3
	s_mul_i32 s3, s13, s36
	s_add_i32 s3, s2, s3
	s_mul_i32 s2, s12, s36
	s_ashr_i32 s1, s26, 31
	s_lshl_b64 s[40:41], s[2:3], 4
	v_mul_lo_u32 v1, s0, v8
	s_mov_b32 s0, s26
	s_add_u32 s2, s22, s40
	s_addc_u32 s3, s23, s41
	s_lshl_b64 s[42:43], s[0:1], 4
	s_mul_i32 s0, s28, s36
	s_add_u32 s24, s2, s42
	s_mul_i32 s0, s0, s29
	s_addc_u32 s25, s3, s43
	s_ashr_i32 s1, s0, 31
	s_lshl_b64 s[38:39], s[0:1], 4
	s_add_u32 s30, s34, s38
	s_mul_hi_u32 s0, s16, s36
	s_mul_i32 s1, s16, s37
	s_addc_u32 s31, s35, s39
	s_add_i32 s0, s0, s1
	s_mul_i32 s1, s17, s36
	s_add_i32 s1, s0, s1
	s_mul_i32 s0, s16, s36
	s_lshl_b64 s[0:1], s[0:1], 2
	v_bfe_u32 v2, v0, 10, 10
	s_add_u32 s16, s14, s0
	v_mul_u32_u24_e32 v2, s5, v2
	v_bfe_u32 v0, v0, 20, 10
	s_addc_u32 s17, s15, s1
	v_add3_u32 v42, v1, v2, v0
	s_cmp_lt_i32 s28, 1
	v_lshlrev_b32_e32 v12, 4, v8
	v_mul_lo_u32 v9, v8, s27
	s_cbranch_scc1 .LBB8_258
; %bb.3:
	s_add_i32 s26, s29, -1
	s_cmp_eq_u32 s29, s28
	s_cselect_b64 s[44:45], -1, 0
	s_add_i32 s33, s28, -1
	s_add_i32 s76, s27, 1
	s_add_i32 s77, s28, -2
	s_add_i32 s78, s28, 1
	s_add_u32 s46, s34, s38
	s_movk_i32 s0, 0x80
	s_addc_u32 s47, s35, s39
	v_cmp_gt_u32_e64 s[2:3], s0, v8
	s_add_u32 s0, s40, s42
	s_addc_u32 s1, s41, s43
	s_add_u32 s48, s22, s0
	s_addc_u32 s49, s23, s1
	s_ashr_i32 s7, s27, 31
	s_mov_b32 s6, s27
	s_lshl_b64 s[50:51], s[6:7], 4
	s_mov_b32 s1, 0
	s_add_u32 s52, s46, 8
	s_mov_b32 s0, s28
	v_lshlrev_b32_e32 v0, 4, v42
	v_mov_b32_e32 v17, 0
	s_addc_u32 s53, s47, 0
	s_lshl_b64 s[54:55], s[0:1], 4
	s_lshl_b32 s0, s28, 8
	v_add_u32_e32 v15, 0x1c20, v0
	v_add_u32_e32 v43, 0xc20, v0
	v_mov_b32_e32 v0, 0x800
	v_mov_b32_e32 v13, v17
	s_ashr_i32 s1, s0, 31
	v_lshl_add_u32 v45, v8, 2, v0
	v_lshl_add_u64 v[0:1], s[48:49], 0, v[12:13]
	s_lshl_b32 s79, s27, 8
	s_lshl_b64 s[56:57], s[0:1], 4
	v_add_u32_e32 v14, 2, v8
	v_lshl_add_u64 v[18:19], v[0:1], 0, 8
	v_lshl_add_u64 v[0:1], s[46:47], 0, v[12:13]
	v_mul_lo_u32 v24, v8, s28
	s_add_u32 s58, s48, 8
	s_mov_b32 s64, 0
	s_mov_b32 s66, 0x66afed07
	v_lshlrev_b32_e32 v44, 3, v8
	v_cmp_gt_u32_e64 s[4:5], 64, v8
	v_lshl_add_u64 v[20:21], v[0:1], 0, 16
	v_lshl_add_u64 v[22:23], v[0:1], 0, 8
	v_mul_lo_u32 v13, v8, s27
	v_ashrrev_i32_e32 v25, 31, v24
	v_add_u32_e32 v46, s27, v14
	s_addc_u32 s59, s49, 0
	s_mov_b64 s[60:61], 0
	s_mov_b64 s[62:63], 0x1000
	s_brev_b32 s65, 1
	s_brev_b32 s80, -2
	s_mov_b32 s67, 0x3fe47e0f
	v_mov_b32_e32 v10, v17
                                        ; implicit-def: $sgpr68_sgpr69
	s_branch .LBB8_6
.LBB8_4:                                ;   in Loop: Header=BB8_6 Depth=1
	s_or_b64 exec, exec, s[0:1]
	v_add_u32_e32 v10, v2, v10
	v_cmp_le_i32_e32 vcc, s28, v10
	s_andn2_b64 s[0:1], s[68:69], exec
	s_and_b64 s[6:7], vcc, exec
	s_or_b64 s[68:69], s[0:1], s[6:7]
.LBB8_5:                                ;   in Loop: Header=BB8_6 Depth=1
	s_or_b64 exec, exec, s[70:71]
	s_and_b64 s[0:1], exec, s[68:69]
	s_or_b64 s[60:61], s[0:1], s[60:61]
	s_andn2_b64 exec, exec, s[60:61]
	s_cbranch_execz .LBB8_226
.LBB8_6:                                ; =>This Loop Header: Depth=1
                                        ;     Child Loop BB8_11 Depth 2
                                        ;     Child Loop BB8_16 Depth 2
                                        ;       Child Loop BB8_18 Depth 3
                                        ;     Child Loop BB8_22 Depth 2
                                        ;     Child Loop BB8_64 Depth 2
	;; [unrolled: 1-line block ×4, first 2 shown]
                                        ;       Child Loop BB8_76 Depth 3
                                        ;     Child Loop BB8_81 Depth 2
                                        ;     Child Loop BB8_122 Depth 2
	;; [unrolled: 1-line block ×9, first 2 shown]
	v_cmp_gt_i32_e32 vcc, s26, v10
	s_or_b64 s[0:1], s[44:45], vcc
	s_or_b64 s[68:69], s[68:69], exec
	s_and_saveexec_b64 s[70:71], s[0:1]
	s_cbranch_execz .LBB8_5
; %bb.7:                                ;   in Loop: Header=BB8_6 Depth=1
	v_sub_u32_e32 v41, s28, v10
	v_cmp_lt_i32_e64 s[8:9], v8, v41
	v_cmp_ge_i32_e32 vcc, v8, v41
	v_mul_lo_u32 v4, v10, s28
	s_and_saveexec_b64 s[0:1], vcc
	s_xor_b64 s[0:1], exec, s[0:1]
; %bb.8:                                ;   in Loop: Header=BB8_6 Depth=1
	v_mul_lo_u32 v4, v10, s28
; %bb.9:                                ;   in Loop: Header=BB8_6 Depth=1
	s_andn2_saveexec_b64 s[0:1], s[0:1]
	s_cbranch_execz .LBB8_13
; %bb.10:                               ;   in Loop: Header=BB8_6 Depth=1
	v_mad_u64_u32 v[0:1], s[6:7], s78, v10, v[8:9]
	v_mad_u64_u32 v[2:3], s[6:7], s76, v10, v[8:9]
	v_mov_b32_e32 v1, v17
	v_ashrrev_i32_e32 v3, 31, v2
	v_lshl_add_u64 v[0:1], v[0:1], 4, s[46:47]
	v_lshl_add_u64 v[2:3], v[2:3], 4, s[48:49]
	s_mov_b64 s[6:7], 0
	v_mov_b32_e32 v5, v8
.LBB8_11:                               ;   Parent Loop BB8_6 Depth=1
                                        ; =>  This Inner Loop Header: Depth=2
	global_load_dwordx4 v[26:29], v[2:3], off
	v_add_u32_e32 v5, 0x100, v5
	v_cmp_ge_i32_e32 vcc, v5, v41
	v_lshl_add_u64 v[2:3], v[2:3], 0, s[62:63]
	s_or_b64 s[6:7], vcc, s[6:7]
	s_waitcnt vmcnt(0)
	global_store_dwordx4 v[0:1], v[26:29], off
	v_lshl_add_u64 v[0:1], v[0:1], 0, s[62:63]
	s_andn2_b64 exec, exec, s[6:7]
	s_cbranch_execnz .LBB8_11
; %bb.12:                               ;   in Loop: Header=BB8_6 Depth=1
	s_or_b64 exec, exec, s[6:7]
.LBB8_13:                               ;   in Loop: Header=BB8_6 Depth=1
	s_or_b64 exec, exec, s[0:1]
	v_mov_b32_e32 v11, v17
	v_lshl_add_u64 v[6:7], v[10:11], 4, s[30:31]
	v_ashrrev_i32_e32 v5, 31, v4
	v_lshl_add_u64 v[26:27], v[4:5], 4, v[6:7]
	s_barrier
	s_and_saveexec_b64 s[6:7], s[8:9]
	s_cbranch_execz .LBB8_20
; %bb.14:                               ;   in Loop: Header=BB8_6 Depth=1
	v_lshlrev_b64 v[2:3], 4, v[10:11]
	v_cmp_ne_u32_e32 vcc, 0, v10
	v_lshl_add_u64 v[0:1], v[18:19], 0, v[2:3]
	v_lshl_add_u64 v[2:3], s[52:53], 0, v[2:3]
	s_mov_b64 s[12:13], 0
	v_mov_b32_e32 v16, v8
	s_branch .LBB8_16
.LBB8_15:                               ;   in Loop: Header=BB8_16 Depth=2
	s_or_b64 exec, exec, s[14:15]
	v_lshl_add_u64 v[36:37], v[16:17], 4, v[26:27]
	global_load_dwordx4 v[32:35], v[36:37], off
	v_fma_f64 v[38:39], v[28:29], s[64:65], -v[30:31]
	v_fma_f64 v[30:31], v[30:31], 0, -v[28:29]
	v_add_u32_e32 v16, 0x100, v16
	v_cmp_ge_i32_e64 s[0:1], v16, v41
	s_or_b64 s[12:13], s[0:1], s[12:13]
	v_lshl_add_u64 v[0:1], v[0:1], 0, s[62:63]
	s_waitcnt vmcnt(0)
	v_mov_b64_e32 v[28:29], v[32:33]
	v_fmac_f64_e32 v[28:29], 0x80000000, v[34:35]
	v_fmac_f64_e32 v[34:35], 0, v[32:33]
	v_add_f64 v[28:29], v[38:39], v[28:29]
	v_add_f64 v[30:31], v[30:31], v[34:35]
	global_store_dwordx4 v[36:37], v[28:31], off
	s_andn2_b64 exec, exec, s[12:13]
	s_cbranch_execz .LBB8_20
.LBB8_16:                               ;   Parent Loop BB8_6 Depth=1
                                        ; =>  This Loop Header: Depth=2
                                        ;       Child Loop BB8_18 Depth 3
	v_mov_b64_e32 v[28:29], 0
	v_mov_b64_e32 v[30:31], 0
	s_and_saveexec_b64 s[14:15], vcc
	s_cbranch_execz .LBB8_15
; %bb.17:                               ;   in Loop: Header=BB8_16 Depth=2
	v_mov_b64_e32 v[28:29], 0
	s_mov_b64 s[72:73], 0
	v_mov_b64_e32 v[32:33], v[2:3]
	v_mov_b64_e32 v[34:35], v[0:1]
	v_mov_b32_e32 v36, v10
	v_mov_b64_e32 v[30:31], 0
.LBB8_18:                               ;   Parent Loop BB8_6 Depth=1
                                        ;     Parent Loop BB8_16 Depth=2
                                        ; =>    This Inner Loop Header: Depth=3
	global_load_dwordx4 v[48:51], v[32:33], off offset:-8
	global_load_dwordx4 v[52:55], v[34:35], off offset:-8
	v_add_u32_e32 v36, -1, v36
	v_cmp_eq_u32_e64 s[0:1], 0, v36
	v_lshl_add_u64 v[34:35], v[34:35], 0, s[50:51]
	v_lshl_add_u64 v[32:33], v[32:33], 0, s[54:55]
	s_or_b64 s[72:73], s[0:1], s[72:73]
	s_waitcnt vmcnt(0)
	v_mul_f64 v[38:39], v[50:51], v[54:55]
	v_mul_f64 v[54:55], v[48:49], v[54:55]
	v_fma_f64 v[38:39], v[48:49], v[52:53], -v[38:39]
	v_fmac_f64_e32 v[54:55], v[50:51], v[52:53]
	v_add_f64 v[30:31], v[30:31], v[38:39]
	v_add_f64 v[28:29], v[28:29], v[54:55]
	s_andn2_b64 exec, exec, s[72:73]
	s_cbranch_execnz .LBB8_18
; %bb.19:                               ;   in Loop: Header=BB8_16 Depth=2
	s_or_b64 exec, exec, s[72:73]
	s_branch .LBB8_15
.LBB8_20:                               ;   in Loop: Header=BB8_6 Depth=1
	s_or_b64 exec, exec, s[6:7]
	v_add_u32_e32 v40, -1, v41
	v_cmp_lt_i32_e64 s[6:7], v8, v40
	v_bfrev_b32_e32 v16, -2
	v_mov_b64_e32 v[0:1], 0
	s_barrier
	s_and_saveexec_b64 s[72:73], s[6:7]
	s_cbranch_execz .LBB8_24
; %bb.21:                               ;   in Loop: Header=BB8_6 Depth=1
	v_lshlrev_b64 v[0:1], 4, v[10:11]
	v_lshl_add_u64 v[0:1], v[4:5], 4, v[0:1]
	v_lshl_add_u64 v[2:3], v[20:21], 0, v[0:1]
	v_bfrev_b32_e32 v16, -2
	v_mov_b64_e32 v[0:1], 0
	s_mov_b64 s[74:75], 0
	v_mov_b32_e32 v28, v8
.LBB8_22:                               ;   Parent Loop BB8_6 Depth=1
                                        ; =>  This Inner Loop Header: Depth=2
	global_load_dwordx4 v[30:33], v[2:3], off
	v_cmp_eq_u32_e32 vcc, s80, v16
	v_add_u32_e32 v29, 1, v28
	v_add_u32_e32 v28, 0x100, v28
	v_cmp_ge_i32_e64 s[0:1], v28, v40
	v_lshl_add_u64 v[2:3], v[2:3], 0, s[62:63]
	s_waitcnt vmcnt(0)
	v_xor_b32_e32 v34, 0x80000000, v31
	v_xor_b32_e32 v35, 0x80000000, v33
	v_cmp_gt_f64_e64 s[12:13], 0, v[32:33]
	v_cmp_gt_f64_e64 s[14:15], 0, v[30:31]
	s_nop 0
	v_cndmask_b32_e64 v33, v33, v35, s[12:13]
	v_cndmask_b32_e64 v31, v31, v34, s[14:15]
	v_add_f64 v[30:31], v[30:31], v[32:33]
	v_cmp_lt_f64_e64 s[12:13], v[0:1], v[30:31]
	s_or_b64 vcc, s[12:13], vcc
	v_cndmask_b32_e32 v16, v16, v29, vcc
	v_cndmask_b32_e32 v1, v1, v31, vcc
	s_or_b64 s[74:75], s[0:1], s[74:75]
	v_cndmask_b32_e32 v0, v0, v30, vcc
	s_andn2_b64 exec, exec, s[74:75]
	s_cbranch_execnz .LBB8_22
; %bb.23:                               ;   in Loop: Header=BB8_6 Depth=1
	s_or_b64 exec, exec, s[74:75]
.LBB8_24:                               ;   in Loop: Header=BB8_6 Depth=1
	s_or_b64 exec, exec, s[72:73]
	v_cmp_lt_i32_e32 vcc, 2, v41
	ds_write_b64 v44, v[0:1]
	ds_write_b32 v45, v16
	s_waitcnt lgkmcnt(0)
	s_barrier
	s_and_saveexec_b64 s[14:15], vcc
	s_cbranch_execz .LBB8_58
; %bb.25:                               ;   in Loop: Header=BB8_6 Depth=1
	s_and_saveexec_b64 s[12:13], s[2:3]
	s_cbranch_execz .LBB8_31
; %bb.26:                               ;   in Loop: Header=BB8_6 Depth=1
	ds_read_b64 v[2:3], v44 offset:1024
	ds_read_b32 v28, v45 offset:512
	s_waitcnt lgkmcnt(1)
	v_cmp_lt_f64_e64 s[72:73], v[0:1], v[2:3]
	v_cmp_nlt_f64_e32 vcc, v[0:1], v[2:3]
	s_and_saveexec_b64 s[74:75], vcc
	s_cbranch_execz .LBB8_28
; %bb.27:                               ;   in Loop: Header=BB8_6 Depth=1
	v_cmp_eq_f64_e32 vcc, v[0:1], v[2:3]
	s_waitcnt lgkmcnt(0)
	v_cmp_gt_i32_e64 s[0:1], v16, v28
	s_and_b64 s[0:1], vcc, s[0:1]
	s_andn2_b64 s[72:73], s[72:73], exec
	s_and_b64 s[0:1], s[0:1], exec
	s_or_b64 s[72:73], s[72:73], s[0:1]
.LBB8_28:                               ;   in Loop: Header=BB8_6 Depth=1
	s_or_b64 exec, exec, s[74:75]
	s_and_saveexec_b64 s[0:1], s[72:73]
	s_cbranch_execz .LBB8_30
; %bb.29:                               ;   in Loop: Header=BB8_6 Depth=1
	v_mov_b64_e32 v[0:1], v[2:3]
	s_waitcnt lgkmcnt(0)
	v_mov_b32_e32 v16, v28
	ds_write_b64 v44, v[2:3]
	ds_write_b32 v45, v28
.LBB8_30:                               ;   in Loop: Header=BB8_6 Depth=1
	s_or_b64 exec, exec, s[0:1]
.LBB8_31:                               ;   in Loop: Header=BB8_6 Depth=1
	s_or_b64 exec, exec, s[12:13]
	s_waitcnt lgkmcnt(0)
	s_barrier
	s_and_b64 exec, exec, s[4:5]
	s_cbranch_execz .LBB8_58
; %bb.32:                               ;   in Loop: Header=BB8_6 Depth=1
	ds_read_b64 v[2:3], v44 offset:512
	ds_read_b32 v28, v45 offset:256
	s_waitcnt lgkmcnt(1)
	v_cmp_lt_f64_e64 s[12:13], v[0:1], v[2:3]
	v_cmp_nlt_f64_e32 vcc, v[0:1], v[2:3]
	s_and_saveexec_b64 s[72:73], vcc
	s_cbranch_execz .LBB8_34
; %bb.33:                               ;   in Loop: Header=BB8_6 Depth=1
	v_cmp_eq_f64_e32 vcc, v[0:1], v[2:3]
	s_waitcnt lgkmcnt(0)
	v_cmp_gt_i32_e64 s[0:1], v16, v28
	s_and_b64 s[0:1], vcc, s[0:1]
	s_andn2_b64 s[12:13], s[12:13], exec
	s_and_b64 s[0:1], s[0:1], exec
	s_or_b64 s[12:13], s[12:13], s[0:1]
.LBB8_34:                               ;   in Loop: Header=BB8_6 Depth=1
	s_or_b64 exec, exec, s[72:73]
	s_and_saveexec_b64 s[0:1], s[12:13]
	s_cbranch_execz .LBB8_36
; %bb.35:                               ;   in Loop: Header=BB8_6 Depth=1
	s_waitcnt lgkmcnt(0)
	v_mov_b32_e32 v16, v28
	v_mov_b64_e32 v[0:1], v[2:3]
	ds_write_b64 v44, v[2:3]
	ds_write_b32 v45, v28
.LBB8_36:                               ;   in Loop: Header=BB8_6 Depth=1
	s_or_b64 exec, exec, s[0:1]
	ds_read_b64 v[2:3], v44 offset:256
	s_waitcnt lgkmcnt(1)
	ds_read_b32 v28, v45 offset:128
	s_waitcnt lgkmcnt(1)
	v_cmp_lt_f64_e64 s[12:13], v[0:1], v[2:3]
	v_cmp_nlt_f64_e32 vcc, v[0:1], v[2:3]
	s_and_saveexec_b64 s[72:73], vcc
	s_cbranch_execz .LBB8_38
; %bb.37:                               ;   in Loop: Header=BB8_6 Depth=1
	v_cmp_eq_f64_e32 vcc, v[0:1], v[2:3]
	s_waitcnt lgkmcnt(0)
	v_cmp_gt_i32_e64 s[0:1], v16, v28
	s_and_b64 s[0:1], vcc, s[0:1]
	s_andn2_b64 s[12:13], s[12:13], exec
	s_and_b64 s[0:1], s[0:1], exec
	s_or_b64 s[12:13], s[12:13], s[0:1]
.LBB8_38:                               ;   in Loop: Header=BB8_6 Depth=1
	s_or_b64 exec, exec, s[72:73]
	s_and_saveexec_b64 s[0:1], s[12:13]
	s_cbranch_execz .LBB8_40
; %bb.39:                               ;   in Loop: Header=BB8_6 Depth=1
	s_waitcnt lgkmcnt(0)
	v_mov_b32_e32 v16, v28
	v_mov_b64_e32 v[0:1], v[2:3]
	ds_write_b64 v44, v[2:3]
	ds_write_b32 v45, v28
.LBB8_40:                               ;   in Loop: Header=BB8_6 Depth=1
	s_or_b64 exec, exec, s[0:1]
	ds_read_b64 v[2:3], v44 offset:128
	s_waitcnt lgkmcnt(1)
	;; [unrolled: 28-line block ×6, first 2 shown]
	ds_read_b32 v28, v45 offset:4
	s_waitcnt lgkmcnt(1)
	v_cmp_eq_f64_e64 s[0:1], v[0:1], v[2:3]
	s_waitcnt lgkmcnt(0)
	v_cmp_gt_i32_e64 s[12:13], v16, v28
	v_cmp_lt_f64_e32 vcc, v[0:1], v[2:3]
	s_and_b64 s[0:1], s[0:1], s[12:13]
	s_or_b64 s[0:1], vcc, s[0:1]
	s_and_b64 exec, exec, s[0:1]
	s_cbranch_execz .LBB8_58
; %bb.57:                               ;   in Loop: Header=BB8_6 Depth=1
	ds_write_b64 v44, v[2:3]
	ds_write_b32 v45, v28
.LBB8_58:                               ;   in Loop: Header=BB8_6 Depth=1
	s_or_b64 exec, exec, s[14:15]
	s_and_saveexec_b64 s[0:1], s[10:11]
	s_cbranch_execz .LBB8_60
; %bb.59:                               ;   in Loop: Header=BB8_6 Depth=1
	global_load_dwordx4 v[0:3], v[26:27], off
	ds_read_b32 v16, v17 offset:2048
	ds_read_b64 v[30:31], v17
	s_waitcnt lgkmcnt(1)
	v_add_u32_e32 v16, v16, v10
	ds_write_b32 v17, v16 offset:3096
	s_waitcnt vmcnt(0)
	v_xor_b32_e32 v16, 0x80000000, v1
	v_cmp_gt_f64_e32 vcc, 0, v[0:1]
	v_xor_b32_e32 v28, 0x80000000, v3
	s_nop 0
	v_cndmask_b32_e32 v1, v1, v16, vcc
	v_cmp_gt_f64_e32 vcc, 0, v[2:3]
	s_nop 1
	v_cndmask_b32_e32 v3, v3, v28, vcc
	v_add_f64 v[28:29], v[0:1], v[2:3]
	s_waitcnt lgkmcnt(1)
	ds_write_b128 v17, v[28:31] offset:3072
.LBB8_60:                               ;   in Loop: Header=BB8_6 Depth=1
	s_or_b64 exec, exec, s[0:1]
	s_waitcnt lgkmcnt(0)
	s_barrier
	ds_read_b128 v[0:3], v17 offset:3072
	v_add_u32_e32 v47, 1, v10
	s_waitcnt lgkmcnt(0)
	v_cmp_lt_f64_e32 vcc, v[0:1], v[2:3]
	s_nop 1
	v_cndmask_b32_e32 v29, v1, v3, vcc
	v_cndmask_b32_e32 v28, v0, v2, vcc
	v_cmp_neq_f64_e32 vcc, 0, v[28:29]
	s_cbranch_vccz .LBB8_78
; %bb.61:                               ;   in Loop: Header=BB8_6 Depth=1
	v_mul_f64 v[2:3], v[2:3], s[66:67]
	v_cmp_ge_f64_e32 vcc, v[0:1], v[2:3]
	s_cbranch_vccnz .LBB8_169
; %bb.62:                               ;   in Loop: Header=BB8_6 Depth=1
	ds_read_b32 v16, v17 offset:3096
	s_waitcnt lgkmcnt(0)
	v_sub_u32_e32 v28, v16, v10
	v_cmp_lt_i32_e32 vcc, v8, v28
	s_and_saveexec_b64 s[0:1], vcc
	s_cbranch_execz .LBB8_65
; %bb.63:                               ;   in Loop: Header=BB8_6 Depth=1
	v_add_u32_e32 v2, v8, v10
	v_mad_u64_u32 v[0:1], s[12:13], v47, s28, v[2:3]
	v_mov_b32_e32 v1, v17
	v_mul_lo_u32 v2, s27, v2
	v_lshl_add_u64 v[0:1], v[0:1], 4, s[46:47]
	v_add_u32_e32 v2, v16, v2
	s_mov_b64 s[12:13], 0
	v_mov_b32_e32 v29, v8
.LBB8_64:                               ;   Parent Loop BB8_6 Depth=1
                                        ; =>  This Inner Loop Header: Depth=2
	v_ashrrev_i32_e32 v3, 31, v2
	v_lshl_add_u64 v[30:31], v[2:3], 4, s[24:25]
	global_load_dwordx4 v[30:33], v[30:31], off
	v_add_u32_e32 v29, 0x100, v29
	v_cmp_ge_i32_e32 vcc, v29, v28
	v_add_u32_e32 v2, s79, v2
	s_or_b64 s[12:13], vcc, s[12:13]
	s_waitcnt vmcnt(0)
	global_store_dwordx4 v[0:1], v[30:33], off
	v_lshl_add_u64 v[0:1], v[0:1], 0, s[62:63]
	s_andn2_b64 exec, exec, s[12:13]
	s_cbranch_execnz .LBB8_64
.LBB8_65:                               ;   in Loop: Header=BB8_6 Depth=1
	s_or_b64 exec, exec, s[0:1]
	v_sub_u32_e32 v1, s28, v16
	v_cmp_ge_i32_e32 vcc, v8, v1
                                        ; implicit-def: $vgpr0
	s_and_saveexec_b64 s[0:1], vcc
	s_xor_b64 s[0:1], exec, s[0:1]
; %bb.66:                               ;   in Loop: Header=BB8_6 Depth=1
	v_mul_lo_u32 v0, v47, s28
                                        ; implicit-def: $vgpr1
                                        ; implicit-def: $vgpr16
; %bb.67:                               ;   in Loop: Header=BB8_6 Depth=1
	s_andn2_saveexec_b64 s[0:1], s[0:1]
	s_cbranch_execz .LBB8_71
; %bb.68:                               ;   in Loop: Header=BB8_6 Depth=1
	v_mul_lo_u32 v0, v47, s28
	v_add3_u32 v2, v8, v16, v0
	v_mul_lo_u32 v16, s76, v16
	v_add_u32_e32 v28, v8, v16
	v_ashrrev_i32_e32 v3, 31, v2
	v_ashrrev_i32_e32 v29, 31, v28
	v_lshl_add_u64 v[2:3], v[2:3], 4, s[46:47]
	v_lshl_add_u64 v[28:29], v[28:29], 4, s[48:49]
	s_mov_b64 s[12:13], 0
	v_mov_b32_e32 v16, v8
.LBB8_69:                               ;   Parent Loop BB8_6 Depth=1
                                        ; =>  This Inner Loop Header: Depth=2
	global_load_dwordx4 v[30:33], v[28:29], off
	v_add_u32_e32 v16, 0x100, v16
	v_cmp_ge_i32_e32 vcc, v16, v1
	v_lshl_add_u64 v[28:29], v[28:29], 0, s[62:63]
	s_or_b64 s[12:13], vcc, s[12:13]
	s_waitcnt vmcnt(0)
	global_store_dwordx4 v[2:3], v[30:33], off
	v_lshl_add_u64 v[2:3], v[2:3], 0, s[62:63]
	s_andn2_b64 exec, exec, s[12:13]
	s_cbranch_execnz .LBB8_69
; %bb.70:                               ;   in Loop: Header=BB8_6 Depth=1
	s_or_b64 exec, exec, s[12:13]
.LBB8_71:                               ;   in Loop: Header=BB8_6 Depth=1
	s_or_b64 exec, exec, s[0:1]
	v_ashrrev_i32_e32 v1, 31, v0
	s_barrier
	s_and_saveexec_b64 s[12:13], s[8:9]
	s_cbranch_execz .LBB8_79
; %bb.72:                               ;   in Loop: Header=BB8_6 Depth=1
	ds_read_b32 v30, v17 offset:3096
	v_lshl_add_u64 v[2:3], v[0:1], 4, v[6:7]
	v_cmp_ne_u32_e32 vcc, 0, v10
	v_lshl_add_u64 v[28:29], v[10:11], 4, v[18:19]
	s_mov_b64 s[14:15], 0
	s_waitcnt lgkmcnt(0)
	v_ashrrev_i32_e32 v31, 31, v30
	v_lshlrev_b64 v[30:31], 4, v[30:31]
	v_lshl_add_u64 v[30:31], s[52:53], 0, v[30:31]
	v_mov_b32_e32 v16, v8
	s_branch .LBB8_74
.LBB8_73:                               ;   in Loop: Header=BB8_74 Depth=2
	s_or_b64 exec, exec, s[72:73]
	v_lshl_add_u64 v[48:49], v[16:17], 4, v[2:3]
	global_load_dwordx4 v[36:39], v[48:49], off
	v_fma_f64 v[50:51], v[32:33], s[64:65], -v[34:35]
	v_fma_f64 v[34:35], v[34:35], 0, -v[32:33]
	v_add_u32_e32 v16, 0x100, v16
	v_cmp_ge_i32_e64 s[0:1], v16, v41
	s_or_b64 s[14:15], s[0:1], s[14:15]
	v_lshl_add_u64 v[28:29], v[28:29], 0, s[62:63]
	s_waitcnt vmcnt(0)
	v_mov_b64_e32 v[32:33], v[36:37]
	v_fmac_f64_e32 v[32:33], 0x80000000, v[38:39]
	v_fmac_f64_e32 v[38:39], 0, v[36:37]
	v_add_f64 v[32:33], v[50:51], v[32:33]
	v_add_f64 v[34:35], v[34:35], v[38:39]
	global_store_dwordx4 v[48:49], v[32:35], off
	s_andn2_b64 exec, exec, s[14:15]
	s_cbranch_execz .LBB8_79
.LBB8_74:                               ;   Parent Loop BB8_6 Depth=1
                                        ; =>  This Loop Header: Depth=2
                                        ;       Child Loop BB8_76 Depth 3
	v_mov_b64_e32 v[32:33], 0
	v_mov_b64_e32 v[34:35], 0
	s_and_saveexec_b64 s[72:73], vcc
	s_cbranch_execz .LBB8_73
; %bb.75:                               ;   in Loop: Header=BB8_74 Depth=2
	v_mov_b64_e32 v[32:33], 0
	s_mov_b64 s[74:75], 0
	v_mov_b64_e32 v[36:37], v[30:31]
	v_mov_b64_e32 v[38:39], v[28:29]
	v_mov_b32_e32 v48, v10
	v_mov_b64_e32 v[34:35], 0
.LBB8_76:                               ;   Parent Loop BB8_6 Depth=1
                                        ;     Parent Loop BB8_74 Depth=2
                                        ; =>    This Inner Loop Header: Depth=3
	global_load_dwordx4 v[50:53], v[36:37], off offset:-8
	global_load_dwordx4 v[54:57], v[38:39], off offset:-8
	v_add_u32_e32 v48, -1, v48
	v_cmp_eq_u32_e64 s[0:1], 0, v48
	v_lshl_add_u64 v[38:39], v[38:39], 0, s[50:51]
	v_lshl_add_u64 v[36:37], v[36:37], 0, s[54:55]
	s_or_b64 s[74:75], s[0:1], s[74:75]
	s_waitcnt vmcnt(0)
	v_mul_f64 v[58:59], v[52:53], v[56:57]
	v_mul_f64 v[56:57], v[50:51], v[56:57]
	v_fma_f64 v[50:51], v[50:51], v[54:55], -v[58:59]
	v_fmac_f64_e32 v[56:57], v[52:53], v[54:55]
	v_add_f64 v[34:35], v[34:35], v[50:51]
	v_add_f64 v[32:33], v[32:33], v[56:57]
	s_andn2_b64 exec, exec, s[74:75]
	s_cbranch_execnz .LBB8_76
; %bb.77:                               ;   in Loop: Header=BB8_74 Depth=2
	s_or_b64 exec, exec, s[74:75]
	s_branch .LBB8_73
.LBB8_78:                               ;   in Loop: Header=BB8_6 Depth=1
                                        ; implicit-def: $sgpr12_sgpr13
                                        ; implicit-def: $vgpr28
                                        ; implicit-def: $vgpr2
	s_cbranch_execnz .LBB8_218
	s_branch .LBB8_221
.LBB8_79:                               ;   in Loop: Header=BB8_6 Depth=1
	s_or_b64 exec, exec, s[12:13]
	s_barrier
	ds_read_b32 v2, v17 offset:3096
	v_bfrev_b32_e32 v16, -2
	s_waitcnt lgkmcnt(0)
	v_sub_u32_e32 v30, v2, v10
	v_cmp_lt_i32_e32 vcc, v8, v30
	v_mov_b64_e32 v[2:3], 0
	s_and_saveexec_b64 s[72:73], vcc
	s_cbranch_execz .LBB8_83
; %bb.80:                               ;   in Loop: Header=BB8_6 Depth=1
	v_lshlrev_b64 v[2:3], 4, v[10:11]
	v_lshl_add_u64 v[2:3], v[0:1], 4, v[2:3]
	v_lshl_add_u64 v[28:29], v[22:23], 0, v[2:3]
	v_bfrev_b32_e32 v16, -2
	v_mov_b64_e32 v[2:3], 0
	s_mov_b64 s[74:75], 0
	v_mov_b32_e32 v31, v8
.LBB8_81:                               ;   Parent Loop BB8_6 Depth=1
                                        ; =>  This Inner Loop Header: Depth=2
	global_load_dwordx4 v[32:35], v[28:29], off offset:-8
	v_cmp_eq_u32_e32 vcc, s80, v16
	v_add_u32_e32 v36, 1, v31
	v_add_u32_e32 v31, 0x100, v31
	v_cmp_ge_i32_e64 s[0:1], v31, v30
	v_lshl_add_u64 v[28:29], v[28:29], 0, s[62:63]
	s_waitcnt vmcnt(0)
	v_xor_b32_e32 v37, 0x80000000, v33
	v_xor_b32_e32 v38, 0x80000000, v35
	v_cmp_gt_f64_e64 s[12:13], 0, v[34:35]
	v_cmp_gt_f64_e64 s[14:15], 0, v[32:33]
	s_nop 0
	v_cndmask_b32_e64 v35, v35, v38, s[12:13]
	v_cndmask_b32_e64 v33, v33, v37, s[14:15]
	v_add_f64 v[32:33], v[32:33], v[34:35]
	v_cmp_lt_f64_e64 s[12:13], v[2:3], v[32:33]
	s_or_b64 vcc, s[12:13], vcc
	v_cndmask_b32_e32 v16, v16, v36, vcc
	v_cndmask_b32_e32 v3, v3, v33, vcc
	s_or_b64 s[74:75], s[0:1], s[74:75]
	v_cndmask_b32_e32 v2, v2, v32, vcc
	s_andn2_b64 exec, exec, s[74:75]
	s_cbranch_execnz .LBB8_81
; %bb.82:                               ;   in Loop: Header=BB8_6 Depth=1
	s_or_b64 exec, exec, s[74:75]
.LBB8_83:                               ;   in Loop: Header=BB8_6 Depth=1
	s_or_b64 exec, exec, s[72:73]
	v_cmp_lt_i32_e32 vcc, 1, v30
	ds_write_b64 v44, v[2:3]
	ds_write_b32 v45, v16
	s_waitcnt lgkmcnt(0)
	s_barrier
	s_and_saveexec_b64 s[14:15], vcc
	s_cbranch_execz .LBB8_117
; %bb.84:                               ;   in Loop: Header=BB8_6 Depth=1
	s_and_saveexec_b64 s[12:13], s[2:3]
	s_cbranch_execz .LBB8_90
; %bb.85:                               ;   in Loop: Header=BB8_6 Depth=1
	ds_read_b64 v[28:29], v44 offset:1024
	ds_read_b32 v30, v45 offset:512
	s_waitcnt lgkmcnt(1)
	v_cmp_lt_f64_e64 s[72:73], v[2:3], v[28:29]
	v_cmp_nlt_f64_e32 vcc, v[2:3], v[28:29]
	s_and_saveexec_b64 s[74:75], vcc
	s_cbranch_execz .LBB8_87
; %bb.86:                               ;   in Loop: Header=BB8_6 Depth=1
	v_cmp_eq_f64_e32 vcc, v[2:3], v[28:29]
	s_waitcnt lgkmcnt(0)
	v_cmp_gt_i32_e64 s[0:1], v16, v30
	s_and_b64 s[0:1], vcc, s[0:1]
	s_andn2_b64 s[72:73], s[72:73], exec
	s_and_b64 s[0:1], s[0:1], exec
	s_or_b64 s[72:73], s[72:73], s[0:1]
.LBB8_87:                               ;   in Loop: Header=BB8_6 Depth=1
	s_or_b64 exec, exec, s[74:75]
	s_and_saveexec_b64 s[0:1], s[72:73]
	s_cbranch_execz .LBB8_89
; %bb.88:                               ;   in Loop: Header=BB8_6 Depth=1
	v_mov_b64_e32 v[2:3], v[28:29]
	s_waitcnt lgkmcnt(0)
	v_mov_b32_e32 v16, v30
	ds_write_b64 v44, v[28:29]
	ds_write_b32 v45, v30
.LBB8_89:                               ;   in Loop: Header=BB8_6 Depth=1
	s_or_b64 exec, exec, s[0:1]
.LBB8_90:                               ;   in Loop: Header=BB8_6 Depth=1
	s_or_b64 exec, exec, s[12:13]
	s_waitcnt lgkmcnt(0)
	s_barrier
	s_and_b64 exec, exec, s[4:5]
	s_cbranch_execz .LBB8_117
; %bb.91:                               ;   in Loop: Header=BB8_6 Depth=1
	ds_read_b64 v[28:29], v44 offset:512
	ds_read_b32 v30, v45 offset:256
	s_waitcnt lgkmcnt(1)
	v_cmp_lt_f64_e64 s[12:13], v[2:3], v[28:29]
	v_cmp_nlt_f64_e32 vcc, v[2:3], v[28:29]
	s_and_saveexec_b64 s[72:73], vcc
	s_cbranch_execz .LBB8_93
; %bb.92:                               ;   in Loop: Header=BB8_6 Depth=1
	v_cmp_eq_f64_e32 vcc, v[2:3], v[28:29]
	s_waitcnt lgkmcnt(0)
	v_cmp_gt_i32_e64 s[0:1], v16, v30
	s_and_b64 s[0:1], vcc, s[0:1]
	s_andn2_b64 s[12:13], s[12:13], exec
	s_and_b64 s[0:1], s[0:1], exec
	s_or_b64 s[12:13], s[12:13], s[0:1]
.LBB8_93:                               ;   in Loop: Header=BB8_6 Depth=1
	s_or_b64 exec, exec, s[72:73]
	s_and_saveexec_b64 s[0:1], s[12:13]
	s_cbranch_execz .LBB8_95
; %bb.94:                               ;   in Loop: Header=BB8_6 Depth=1
	s_waitcnt lgkmcnt(0)
	v_mov_b32_e32 v16, v30
	v_mov_b64_e32 v[2:3], v[28:29]
	ds_write_b64 v44, v[28:29]
	ds_write_b32 v45, v30
.LBB8_95:                               ;   in Loop: Header=BB8_6 Depth=1
	s_or_b64 exec, exec, s[0:1]
	ds_read_b64 v[28:29], v44 offset:256
	s_waitcnt lgkmcnt(1)
	ds_read_b32 v30, v45 offset:128
	s_waitcnt lgkmcnt(1)
	v_cmp_lt_f64_e64 s[12:13], v[2:3], v[28:29]
	v_cmp_nlt_f64_e32 vcc, v[2:3], v[28:29]
	s_and_saveexec_b64 s[72:73], vcc
	s_cbranch_execz .LBB8_97
; %bb.96:                               ;   in Loop: Header=BB8_6 Depth=1
	v_cmp_eq_f64_e32 vcc, v[2:3], v[28:29]
	s_waitcnt lgkmcnt(0)
	v_cmp_gt_i32_e64 s[0:1], v16, v30
	s_and_b64 s[0:1], vcc, s[0:1]
	s_andn2_b64 s[12:13], s[12:13], exec
	s_and_b64 s[0:1], s[0:1], exec
	s_or_b64 s[12:13], s[12:13], s[0:1]
.LBB8_97:                               ;   in Loop: Header=BB8_6 Depth=1
	s_or_b64 exec, exec, s[72:73]
	s_and_saveexec_b64 s[0:1], s[12:13]
	s_cbranch_execz .LBB8_99
; %bb.98:                               ;   in Loop: Header=BB8_6 Depth=1
	s_waitcnt lgkmcnt(0)
	v_mov_b32_e32 v16, v30
	v_mov_b64_e32 v[2:3], v[28:29]
	ds_write_b64 v44, v[28:29]
	ds_write_b32 v45, v30
.LBB8_99:                               ;   in Loop: Header=BB8_6 Depth=1
	s_or_b64 exec, exec, s[0:1]
	ds_read_b64 v[28:29], v44 offset:128
	s_waitcnt lgkmcnt(1)
	ds_read_b32 v30, v45 offset:64
	s_waitcnt lgkmcnt(1)
	v_cmp_lt_f64_e64 s[12:13], v[2:3], v[28:29]
	v_cmp_nlt_f64_e32 vcc, v[2:3], v[28:29]
	s_and_saveexec_b64 s[72:73], vcc
	s_cbranch_execz .LBB8_101
; %bb.100:                              ;   in Loop: Header=BB8_6 Depth=1
	v_cmp_eq_f64_e32 vcc, v[2:3], v[28:29]
	s_waitcnt lgkmcnt(0)
	v_cmp_gt_i32_e64 s[0:1], v16, v30
	s_and_b64 s[0:1], vcc, s[0:1]
	s_andn2_b64 s[12:13], s[12:13], exec
	s_and_b64 s[0:1], s[0:1], exec
	s_or_b64 s[12:13], s[12:13], s[0:1]
.LBB8_101:                              ;   in Loop: Header=BB8_6 Depth=1
	s_or_b64 exec, exec, s[72:73]
	s_and_saveexec_b64 s[0:1], s[12:13]
	s_cbranch_execz .LBB8_103
; %bb.102:                              ;   in Loop: Header=BB8_6 Depth=1
	s_waitcnt lgkmcnt(0)
	v_mov_b32_e32 v16, v30
	v_mov_b64_e32 v[2:3], v[28:29]
	ds_write_b64 v44, v[28:29]
	ds_write_b32 v45, v30
.LBB8_103:                              ;   in Loop: Header=BB8_6 Depth=1
	s_or_b64 exec, exec, s[0:1]
	ds_read_b64 v[28:29], v44 offset:64
	s_waitcnt lgkmcnt(1)
	ds_read_b32 v30, v45 offset:32
	s_waitcnt lgkmcnt(1)
	v_cmp_lt_f64_e64 s[12:13], v[2:3], v[28:29]
	v_cmp_nlt_f64_e32 vcc, v[2:3], v[28:29]
	s_and_saveexec_b64 s[72:73], vcc
	s_cbranch_execz .LBB8_105
; %bb.104:                              ;   in Loop: Header=BB8_6 Depth=1
	v_cmp_eq_f64_e32 vcc, v[2:3], v[28:29]
	s_waitcnt lgkmcnt(0)
	v_cmp_gt_i32_e64 s[0:1], v16, v30
	s_and_b64 s[0:1], vcc, s[0:1]
	s_andn2_b64 s[12:13], s[12:13], exec
	s_and_b64 s[0:1], s[0:1], exec
	s_or_b64 s[12:13], s[12:13], s[0:1]
.LBB8_105:                              ;   in Loop: Header=BB8_6 Depth=1
	s_or_b64 exec, exec, s[72:73]
	s_and_saveexec_b64 s[0:1], s[12:13]
	s_cbranch_execz .LBB8_107
; %bb.106:                              ;   in Loop: Header=BB8_6 Depth=1
	s_waitcnt lgkmcnt(0)
	v_mov_b32_e32 v16, v30
	v_mov_b64_e32 v[2:3], v[28:29]
	ds_write_b64 v44, v[28:29]
	ds_write_b32 v45, v30
.LBB8_107:                              ;   in Loop: Header=BB8_6 Depth=1
	;; [unrolled: 28-line block ×4, first 2 shown]
	s_or_b64 exec, exec, s[0:1]
	ds_read_b64 v[28:29], v44 offset:8
	s_waitcnt lgkmcnt(1)
	ds_read_b32 v30, v45 offset:4
	s_waitcnt lgkmcnt(1)
	v_cmp_eq_f64_e64 s[0:1], v[2:3], v[28:29]
	s_waitcnt lgkmcnt(0)
	v_cmp_gt_i32_e64 s[12:13], v16, v30
	v_cmp_lt_f64_e32 vcc, v[2:3], v[28:29]
	s_and_b64 s[0:1], s[0:1], s[12:13]
	s_or_b64 s[0:1], vcc, s[0:1]
	s_and_b64 exec, exec, s[0:1]
	s_cbranch_execz .LBB8_117
; %bb.116:                              ;   in Loop: Header=BB8_6 Depth=1
	ds_write_b64 v44, v[28:29]
	ds_write_b32 v45, v30
.LBB8_117:                              ;   in Loop: Header=BB8_6 Depth=1
	s_or_b64 exec, exec, s[14:15]
	s_and_saveexec_b64 s[0:1], s[10:11]
	s_cbranch_execz .LBB8_119
; %bb.118:                              ;   in Loop: Header=BB8_6 Depth=1
	ds_read_b64 v[2:3], v17
	s_waitcnt lgkmcnt(0)
	ds_write_b64 v17, v[2:3] offset:3088
.LBB8_119:                              ;   in Loop: Header=BB8_6 Depth=1
	s_or_b64 exec, exec, s[0:1]
	ds_read_b32 v2, v17 offset:3096
	s_waitcnt lgkmcnt(0)
	v_cmp_le_i32_e32 vcc, s33, v2
	v_readfirstlane_b32 s0, v2
	s_cbranch_vccnz .LBB8_162
; %bb.120:                              ;   in Loop: Header=BB8_6 Depth=1
	s_not_b32 s1, s0
	s_add_i32 s81, s28, s1
	v_cmp_gt_i32_e32 vcc, s81, v8
	v_bfrev_b32_e32 v16, -2
	v_mov_b64_e32 v[2:3], 0
	s_and_saveexec_b64 s[72:73], vcc
	s_cbranch_execz .LBB8_124
; %bb.121:                              ;   in Loop: Header=BB8_6 Depth=1
	s_ashr_i32 s1, s0, 31
	v_lshlrev_b64 v[2:3], 4, v[0:1]
	v_lshl_add_u64 v[2:3], s[0:1], 4, v[2:3]
	v_lshl_add_u64 v[28:29], v[20:21], 0, v[2:3]
	v_bfrev_b32_e32 v16, -2
	v_mov_b64_e32 v[2:3], 0
	s_mov_b64 s[74:75], 0
	v_mov_b32_e32 v1, v8
.LBB8_122:                              ;   Parent Loop BB8_6 Depth=1
                                        ; =>  This Inner Loop Header: Depth=2
	global_load_dwordx4 v[30:33], v[28:29], off
	v_cmp_eq_u32_e32 vcc, s80, v16
	v_add_u32_e32 v34, 1, v1
	v_add_u32_e32 v1, 0x100, v1
	v_cmp_le_i32_e64 s[0:1], s81, v1
	v_lshl_add_u64 v[28:29], v[28:29], 0, s[62:63]
	s_waitcnt vmcnt(0)
	v_xor_b32_e32 v35, 0x80000000, v31
	v_xor_b32_e32 v36, 0x80000000, v33
	v_cmp_gt_f64_e64 s[12:13], 0, v[32:33]
	v_cmp_gt_f64_e64 s[14:15], 0, v[30:31]
	s_nop 0
	v_cndmask_b32_e64 v33, v33, v36, s[12:13]
	v_cndmask_b32_e64 v31, v31, v35, s[14:15]
	v_add_f64 v[30:31], v[30:31], v[32:33]
	v_cmp_lt_f64_e64 s[12:13], v[2:3], v[30:31]
	s_or_b64 vcc, s[12:13], vcc
	v_cndmask_b32_e32 v16, v16, v34, vcc
	v_cndmask_b32_e32 v3, v3, v31, vcc
	s_or_b64 s[74:75], s[0:1], s[74:75]
	v_cndmask_b32_e32 v2, v2, v30, vcc
	s_andn2_b64 exec, exec, s[74:75]
	s_cbranch_execnz .LBB8_122
; %bb.123:                              ;   in Loop: Header=BB8_6 Depth=1
	s_or_b64 exec, exec, s[74:75]
.LBB8_124:                              ;   in Loop: Header=BB8_6 Depth=1
	s_or_b64 exec, exec, s[72:73]
	s_cmp_lt_i32 s81, 2
	ds_write_b64 v44, v[2:3]
	ds_write_b32 v45, v16
	s_waitcnt lgkmcnt(0)
	s_barrier
	s_cbranch_scc1 .LBB8_159
; %bb.125:                              ;   in Loop: Header=BB8_6 Depth=1
	s_and_saveexec_b64 s[12:13], s[2:3]
	s_cbranch_execz .LBB8_131
; %bb.126:                              ;   in Loop: Header=BB8_6 Depth=1
	ds_read_b64 v[28:29], v44 offset:1024
	ds_read_b32 v1, v45 offset:512
	s_waitcnt lgkmcnt(1)
	v_cmp_lt_f64_e64 s[14:15], v[2:3], v[28:29]
	v_cmp_nlt_f64_e32 vcc, v[2:3], v[28:29]
	s_and_saveexec_b64 s[72:73], vcc
	s_cbranch_execz .LBB8_128
; %bb.127:                              ;   in Loop: Header=BB8_6 Depth=1
	v_cmp_eq_f64_e32 vcc, v[2:3], v[28:29]
	s_waitcnt lgkmcnt(0)
	v_cmp_gt_i32_e64 s[0:1], v16, v1
	s_and_b64 s[0:1], vcc, s[0:1]
	s_andn2_b64 s[14:15], s[14:15], exec
	s_and_b64 s[0:1], s[0:1], exec
	s_or_b64 s[14:15], s[14:15], s[0:1]
.LBB8_128:                              ;   in Loop: Header=BB8_6 Depth=1
	s_or_b64 exec, exec, s[72:73]
	s_and_saveexec_b64 s[0:1], s[14:15]
	s_cbranch_execz .LBB8_130
; %bb.129:                              ;   in Loop: Header=BB8_6 Depth=1
	v_mov_b64_e32 v[2:3], v[28:29]
	s_waitcnt lgkmcnt(0)
	v_mov_b32_e32 v16, v1
	ds_write_b64 v44, v[28:29]
	ds_write_b32 v45, v1
.LBB8_130:                              ;   in Loop: Header=BB8_6 Depth=1
	s_or_b64 exec, exec, s[0:1]
.LBB8_131:                              ;   in Loop: Header=BB8_6 Depth=1
	s_or_b64 exec, exec, s[12:13]
	s_waitcnt lgkmcnt(0)
	s_barrier
	s_and_saveexec_b64 s[14:15], s[4:5]
	s_cbranch_execz .LBB8_158
; %bb.132:                              ;   in Loop: Header=BB8_6 Depth=1
	ds_read_b64 v[28:29], v44 offset:512
	ds_read_b32 v1, v45 offset:256
	s_waitcnt lgkmcnt(1)
	v_cmp_lt_f64_e64 s[12:13], v[2:3], v[28:29]
	v_cmp_nlt_f64_e32 vcc, v[2:3], v[28:29]
	s_and_saveexec_b64 s[72:73], vcc
	s_cbranch_execz .LBB8_134
; %bb.133:                              ;   in Loop: Header=BB8_6 Depth=1
	v_cmp_eq_f64_e32 vcc, v[2:3], v[28:29]
	s_waitcnt lgkmcnt(0)
	v_cmp_gt_i32_e64 s[0:1], v16, v1
	s_and_b64 s[0:1], vcc, s[0:1]
	s_andn2_b64 s[12:13], s[12:13], exec
	s_and_b64 s[0:1], s[0:1], exec
	s_or_b64 s[12:13], s[12:13], s[0:1]
.LBB8_134:                              ;   in Loop: Header=BB8_6 Depth=1
	s_or_b64 exec, exec, s[72:73]
	s_and_saveexec_b64 s[0:1], s[12:13]
	s_cbranch_execz .LBB8_136
; %bb.135:                              ;   in Loop: Header=BB8_6 Depth=1
	s_waitcnt lgkmcnt(0)
	v_mov_b32_e32 v16, v1
	v_mov_b64_e32 v[2:3], v[28:29]
	ds_write_b64 v44, v[28:29]
	ds_write_b32 v45, v1
.LBB8_136:                              ;   in Loop: Header=BB8_6 Depth=1
	s_or_b64 exec, exec, s[0:1]
	ds_read_b64 v[28:29], v44 offset:256
	s_waitcnt lgkmcnt(1)
	ds_read_b32 v1, v45 offset:128
	s_waitcnt lgkmcnt(1)
	v_cmp_lt_f64_e64 s[12:13], v[2:3], v[28:29]
	v_cmp_nlt_f64_e32 vcc, v[2:3], v[28:29]
	s_and_saveexec_b64 s[72:73], vcc
	s_cbranch_execz .LBB8_138
; %bb.137:                              ;   in Loop: Header=BB8_6 Depth=1
	v_cmp_eq_f64_e32 vcc, v[2:3], v[28:29]
	s_waitcnt lgkmcnt(0)
	v_cmp_gt_i32_e64 s[0:1], v16, v1
	s_and_b64 s[0:1], vcc, s[0:1]
	s_andn2_b64 s[12:13], s[12:13], exec
	s_and_b64 s[0:1], s[0:1], exec
	s_or_b64 s[12:13], s[12:13], s[0:1]
.LBB8_138:                              ;   in Loop: Header=BB8_6 Depth=1
	s_or_b64 exec, exec, s[72:73]
	s_and_saveexec_b64 s[0:1], s[12:13]
	s_cbranch_execz .LBB8_140
; %bb.139:                              ;   in Loop: Header=BB8_6 Depth=1
	s_waitcnt lgkmcnt(0)
	v_mov_b32_e32 v16, v1
	v_mov_b64_e32 v[2:3], v[28:29]
	ds_write_b64 v44, v[28:29]
	ds_write_b32 v45, v1
.LBB8_140:                              ;   in Loop: Header=BB8_6 Depth=1
	s_or_b64 exec, exec, s[0:1]
	ds_read_b64 v[28:29], v44 offset:128
	s_waitcnt lgkmcnt(1)
	;; [unrolled: 28-line block ×6, first 2 shown]
	ds_read_b32 v1, v45 offset:4
	s_waitcnt lgkmcnt(1)
	v_cmp_eq_f64_e64 s[0:1], v[2:3], v[28:29]
	s_waitcnt lgkmcnt(0)
	v_cmp_gt_i32_e64 s[12:13], v16, v1
	v_cmp_lt_f64_e32 vcc, v[2:3], v[28:29]
	s_and_b64 s[0:1], s[0:1], s[12:13]
	s_or_b64 s[0:1], vcc, s[0:1]
	s_and_b64 exec, exec, s[0:1]
	s_cbranch_execz .LBB8_158
; %bb.157:                              ;   in Loop: Header=BB8_6 Depth=1
	ds_write_b64 v44, v[28:29]
	ds_write_b32 v45, v1
.LBB8_158:                              ;   in Loop: Header=BB8_6 Depth=1
	s_or_b64 exec, exec, s[14:15]
.LBB8_159:                              ;   in Loop: Header=BB8_6 Depth=1
	s_and_saveexec_b64 s[0:1], s[10:11]
	s_cbranch_execz .LBB8_161
; %bb.160:                              ;   in Loop: Header=BB8_6 Depth=1
	ds_read_b64 v[2:3], v17 offset:3088
	ds_read_b64 v[28:29], v17
	s_waitcnt lgkmcnt(0)
	v_cmp_lt_f64_e32 vcc, v[2:3], v[28:29]
	s_nop 1
	v_cndmask_b32_e32 v3, v3, v29, vcc
	v_cndmask_b32_e32 v2, v2, v28, vcc
	ds_write_b64 v17, v[2:3] offset:3088
.LBB8_161:                              ;   in Loop: Header=BB8_6 Depth=1
	s_or_b64 exec, exec, s[0:1]
.LBB8_162:                              ;   in Loop: Header=BB8_6 Depth=1
	s_waitcnt lgkmcnt(0)
	s_barrier
	ds_read_b128 v[28:31], v17 offset:3072
	ds_read_b64 v[2:3], v17 offset:3088
	s_waitcnt lgkmcnt(1)
	v_mul_f64 v[36:37], v[30:31], s[66:67]
	s_waitcnt lgkmcnt(0)
	v_div_scale_f64 v[32:33], s[0:1], v[2:3], v[2:3], v[30:31]
	v_rcp_f64_e32 v[34:35], v[32:33]
	s_nop 0
	v_fma_f64 v[38:39], -v[32:33], v[34:35], 1.0
	v_fmac_f64_e32 v[34:35], v[34:35], v[38:39]
	v_fma_f64 v[38:39], -v[32:33], v[34:35], 1.0
	v_fmac_f64_e32 v[34:35], v[34:35], v[38:39]
	v_div_scale_f64 v[38:39], vcc, v[30:31], v[2:3], v[30:31]
	v_mul_f64 v[48:49], v[38:39], v[34:35]
	v_fma_f64 v[32:33], -v[32:33], v[48:49], v[38:39]
	s_nop 1
	v_div_fmas_f64 v[32:33], v[32:33], v[34:35], v[48:49]
	v_div_fixup_f64 v[30:31], v[32:33], v[2:3], v[30:31]
	v_mul_f64 v[30:31], v[36:37], v[30:31]
	v_cmp_ge_f64_e32 vcc, v[28:29], v[30:31]
	s_cbranch_vccnz .LBB8_169
; %bb.163:                              ;   in Loop: Header=BB8_6 Depth=1
	ds_read_b32 v28, v17 offset:3096
	v_mul_f64 v[2:3], v[2:3], s[66:67]
	s_mov_b64 s[0:1], 0
	s_waitcnt lgkmcnt(0)
	v_add_u32_e32 v30, v28, v0
	v_ashrrev_i32_e32 v31, 31, v30
	v_lshl_add_u64 v[30:31], v[30:31], 4, s[30:31]
	global_load_dwordx4 v[30:33], v[30:31], off
	s_waitcnt vmcnt(0)
	v_xor_b32_e32 v1, 0x80000000, v31
	v_cmp_gt_f64_e32 vcc, 0, v[30:31]
	v_xor_b32_e32 v16, 0x80000000, v33
	s_nop 0
	v_cndmask_b32_e32 v31, v31, v1, vcc
	v_cmp_gt_f64_e32 vcc, 0, v[32:33]
	s_nop 1
	v_cndmask_b32_e32 v33, v33, v16, vcc
	v_add_f64 v[30:31], v[30:31], v[32:33]
	v_cmp_ge_f64_e32 vcc, v[30:31], v[2:3]
	v_mov_b32_e32 v16, 2
	s_and_saveexec_b64 s[12:13], vcc
	s_cbranch_execz .LBB8_168
; %bb.164:                              ;   in Loop: Header=BB8_6 Depth=1
	s_and_saveexec_b64 s[0:1], s[8:9]
	s_cbranch_execz .LBB8_167
; %bb.165:                              ;   in Loop: Header=BB8_6 Depth=1
	v_mad_u64_u32 v[2:3], s[8:9], s78, v10, v[8:9]
	v_add3_u32 v0, v8, v10, v0
	v_ashrrev_i32_e32 v3, 31, v2
	v_ashrrev_i32_e32 v1, 31, v0
	v_lshl_add_u64 v[2:3], v[2:3], 4, s[46:47]
	v_lshl_add_u64 v[0:1], v[0:1], 4, s[46:47]
	s_mov_b64 s[8:9], 0
	v_mov_b32_e32 v16, v8
.LBB8_166:                              ;   Parent Loop BB8_6 Depth=1
                                        ; =>  This Inner Loop Header: Depth=2
	global_load_dwordx4 v[30:33], v[0:1], off
	v_add_u32_e32 v16, 0x100, v16
	v_cmp_ge_i32_e32 vcc, v16, v41
	v_lshl_add_u64 v[0:1], v[0:1], 0, s[62:63]
	s_or_b64 s[8:9], vcc, s[8:9]
	s_waitcnt vmcnt(0)
	global_store_dwordx4 v[2:3], v[30:33], off
	v_lshl_add_u64 v[2:3], v[2:3], 0, s[62:63]
	s_andn2_b64 exec, exec, s[8:9]
	s_cbranch_execnz .LBB8_166
.LBB8_167:                              ;   in Loop: Header=BB8_6 Depth=1
	s_or_b64 exec, exec, s[0:1]
	s_mov_b64 s[0:1], exec
	v_mov_b32_e32 v16, 1
	s_barrier
.LBB8_168:                              ;   in Loop: Header=BB8_6 Depth=1
	s_or_b64 exec, exec, s[12:13]
	s_branch .LBB8_170
.LBB8_169:                              ;   in Loop: Header=BB8_6 Depth=1
	s_mov_b64 s[0:1], -1
	v_mov_b32_e32 v16, 1
	v_mov_b32_e32 v28, v10
.LBB8_170:                              ;   in Loop: Header=BB8_6 Depth=1
	v_add_u32_e32 v0, v16, v10
	v_add_u32_e32 v1, -1, v0
	v_cmp_ne_u32_e32 vcc, v28, v1
	s_and_saveexec_b64 s[8:9], vcc
	s_cbranch_execz .LBB8_186
; %bb.171:                              ;   in Loop: Header=BB8_6 Depth=1
	s_and_saveexec_b64 s[12:13], s[10:11]
	s_cbranch_execz .LBB8_173
; %bb.172:                              ;   in Loop: Header=BB8_6 Depth=1
	v_mul_lo_u32 v2, v1, s76
	v_ashrrev_i32_e32 v3, 31, v2
	v_lshl_add_u64 v[2:3], v[2:3], 4, s[24:25]
	global_load_dwordx4 v[30:33], v[2:3], off
	v_mul_lo_u32 v2, v28, s76
	v_ashrrev_i32_e32 v3, 31, v2
	v_lshl_add_u64 v[2:3], v[2:3], 4, s[24:25]
	s_waitcnt vmcnt(0)
	global_store_dwordx4 v[2:3], v[30:33], off
.LBB8_173:                              ;   in Loop: Header=BB8_6 Depth=1
	s_or_b64 exec, exec, s[12:13]
	v_sub_u32_e32 v29, v28, v0
	v_cmp_lt_i32_e32 vcc, v8, v29
	s_and_saveexec_b64 s[12:13], vcc
	s_cbranch_execz .LBB8_176
; %bb.174:                              ;   in Loop: Header=BB8_6 Depth=1
	v_add3_u32 v2, v8, v16, v10
	v_mad_u64_u32 v[2:3], s[14:15], s27, v2, v[28:29]
	v_mad_u64_u32 v[30:31], s[14:15], v1, s27, v[0:1]
	s_mov_b64 s[14:15], 0
	v_mov_b32_e32 v31, v8
.LBB8_175:                              ;   Parent Loop BB8_6 Depth=1
                                        ; =>  This Inner Loop Header: Depth=2
	v_add_u32_e32 v32, v30, v31
	v_ashrrev_i32_e32 v33, 31, v32
	v_lshl_add_u64 v[32:33], v[32:33], 4, s[24:25]
	global_load_dwordx4 v[32:35], v[32:33], off
	v_add_u32_e32 v31, 0x100, v31
	v_ashrrev_i32_e32 v3, 31, v2
	v_cmp_ge_i32_e32 vcc, v31, v29
	v_lshl_add_u64 v[36:37], v[2:3], 4, s[24:25]
	v_add_u32_e32 v2, s79, v2
	s_or_b64 s[14:15], vcc, s[14:15]
	s_waitcnt vmcnt(0)
	global_store_dwordx4 v[36:37], v[32:35], off
	s_andn2_b64 exec, exec, s[14:15]
	s_cbranch_execnz .LBB8_175
.LBB8_176:                              ;   in Loop: Header=BB8_6 Depth=1
	s_or_b64 exec, exec, s[12:13]
	v_xad_u32 v29, v28, -1, s28
	v_cmp_lt_i32_e32 vcc, v8, v29
	s_and_saveexec_b64 s[12:13], vcc
	s_cbranch_execz .LBB8_179
; %bb.177:                              ;   in Loop: Header=BB8_6 Depth=1
	v_mul_lo_u32 v1, v1, s27
	v_mad_u64_u32 v[2:3], s[14:15], s76, v28, 1
	v_add3_u32 v1, v28, v1, 1
	s_mov_b64 s[14:15], 0
	v_mov_b32_e32 v3, v8
.LBB8_178:                              ;   Parent Loop BB8_6 Depth=1
                                        ; =>  This Inner Loop Header: Depth=2
	v_add_u32_e32 v30, v1, v3
	v_ashrrev_i32_e32 v31, 31, v30
	v_lshl_add_u64 v[30:31], v[30:31], 4, s[24:25]
	global_load_dwordx4 v[30:33], v[30:31], off
	v_add_u32_e32 v34, v2, v3
	v_add_u32_e32 v3, 0x100, v3
	v_ashrrev_i32_e32 v35, 31, v34
	v_cmp_ge_i32_e32 vcc, v3, v29
	v_lshl_add_u64 v[34:35], v[34:35], 4, s[24:25]
	s_or_b64 s[14:15], vcc, s[14:15]
	s_waitcnt vmcnt(0)
	global_store_dwordx4 v[34:35], v[30:33], off
	s_andn2_b64 exec, exec, s[14:15]
	s_cbranch_execnz .LBB8_178
.LBB8_179:                              ;   in Loop: Header=BB8_6 Depth=1
	s_or_b64 exec, exec, s[12:13]
	v_cmp_lt_u32_e32 vcc, v8, v10
	s_barrier
	s_and_saveexec_b64 s[12:13], vcc
	s_cbranch_execz .LBB8_182
; %bb.180:                              ;   in Loop: Header=BB8_6 Depth=1
	v_ashrrev_i32_e32 v1, 31, v0
	s_mov_b64 s[14:15], 0
	v_mov_b32_e32 v2, v13
	v_mov_b32_e32 v29, v8
.LBB8_181:                              ;   Parent Loop BB8_6 Depth=1
                                        ; =>  This Inner Loop Header: Depth=2
	v_ashrrev_i32_e32 v3, 31, v2
	v_lshl_add_u64 v[30:31], v[2:3], 0, v[0:1]
	v_lshl_add_u64 v[38:39], v[30:31], 4, s[24:25]
	v_add_u32_e32 v30, v28, v2
	v_ashrrev_i32_e32 v31, 31, v30
	v_lshl_add_u64 v[48:49], v[30:31], 4, s[24:25]
	global_load_dwordx4 v[30:33], v[38:39], off offset:-16
	global_load_dwordx4 v[34:37], v[48:49], off
	v_add_u32_e32 v29, 0x100, v29
	v_cmp_ge_u32_e32 vcc, v29, v10
	s_or_b64 s[14:15], vcc, s[14:15]
	v_add_u32_e32 v2, s79, v2
	s_waitcnt vmcnt(1)
	ds_write2_b64 v43, v[30:31], v[32:33] offset1:1
	s_waitcnt vmcnt(0)
	global_store_dwordx4 v[38:39], v[34:37], off offset:-16
	global_store_dwordx4 v[48:49], v[30:33], off
	s_andn2_b64 exec, exec, s[14:15]
	s_cbranch_execnz .LBB8_181
.LBB8_182:                              ;   in Loop: Header=BB8_6 Depth=1
	s_or_b64 exec, exec, s[12:13]
	v_cmp_lt_u32_e32 vcc, v8, v0
	s_and_b64 exec, exec, vcc
	s_cbranch_execz .LBB8_185
; %bb.183:                              ;   in Loop: Header=BB8_6 Depth=1
	v_lshl_add_u64 v[2:3], v[24:25], 0, v[16:17]
	v_add_u32_e32 v30, v24, v28
	v_lshl_add_u64 v[2:3], v[2:3], 0, v[10:11]
	v_ashrrev_i32_e32 v31, 31, v30
	v_lshl_add_u64 v[2:3], v[2:3], 4, -16
	v_lshlrev_b64 v[30:31], 4, v[30:31]
	s_mov_b64 s[12:13], 0
	s_mov_b64 s[14:15], s[30:31]
	v_mov_b32_e32 v1, v8
.LBB8_184:                              ;   Parent Loop BB8_6 Depth=1
                                        ; =>  This Inner Loop Header: Depth=2
	v_lshl_add_u64 v[48:49], s[14:15], 0, v[2:3]
	v_lshl_add_u64 v[50:51], s[14:15], 0, v[30:31]
	global_load_dwordx4 v[32:35], v[48:49], off
	global_load_dwordx4 v[36:39], v[50:51], off
	v_add_u32_e32 v1, 0x100, v1
	s_add_u32 s14, s14, s56
	s_addc_u32 s15, s15, s57
	v_cmp_ge_u32_e32 vcc, v1, v0
	s_or_b64 s[12:13], vcc, s[12:13]
	s_waitcnt vmcnt(1)
	ds_write2_b64 v15, v[32:33], v[34:35] offset1:1
	s_waitcnt vmcnt(0)
	global_store_dwordx4 v[48:49], v[36:39], off
	global_store_dwordx4 v[50:51], v[32:35], off
	s_andn2_b64 exec, exec, s[12:13]
	s_cbranch_execnz .LBB8_184
.LBB8_185:                              ;   in Loop: Header=BB8_6 Depth=1
	s_waitcnt lgkmcnt(0)
	s_barrier
.LBB8_186:                              ;   in Loop: Header=BB8_6 Depth=1
	s_or_b64 exec, exec, s[8:9]
	s_xor_b64 s[0:1], s[0:1], -1
	s_and_saveexec_b64 s[8:9], s[0:1]
	s_xor_b64 s[0:1], exec, s[8:9]
	s_cbranch_execz .LBB8_206
; %bb.187:                              ;   in Loop: Header=BB8_6 Depth=1
	v_cmp_gt_i32_e32 vcc, s77, v10
	s_and_saveexec_b64 s[8:9], vcc
	s_cbranch_execz .LBB8_203
; %bb.188:                              ;   in Loop: Header=BB8_6 Depth=1
	v_mul_lo_u32 v16, v47, s28
	v_lshl_add_u64 v[4:5], v[16:17], 4, v[6:7]
	global_load_dwordx4 v[0:3], v[26:27], off offset:16
	s_nop 0
	global_load_dwordx4 v[4:7], v[4:5], off offset:16
                                        ; implicit-def: $vgpr30_vgpr31
                                        ; implicit-def: $vgpr32_vgpr33
	s_waitcnt vmcnt(1)
	v_cmp_ngt_f64_e64 s[12:13], |v[0:1]|, |v[2:3]|
	s_and_saveexec_b64 s[14:15], s[12:13]
	s_xor_b64 s[14:15], exec, s[14:15]
	s_cbranch_execz .LBB8_190
; %bb.189:                              ;   in Loop: Header=BB8_6 Depth=1
	v_div_scale_f64 v[30:31], s[72:73], v[2:3], v[2:3], v[0:1]
	v_rcp_f64_e32 v[32:33], v[30:31]
	v_div_scale_f64 v[34:35], vcc, v[0:1], v[2:3], v[0:1]
	v_fma_f64 v[36:37], -v[30:31], v[32:33], 1.0
	v_fmac_f64_e32 v[32:33], v[32:33], v[36:37]
	v_fma_f64 v[36:37], -v[30:31], v[32:33], 1.0
	v_fmac_f64_e32 v[32:33], v[32:33], v[36:37]
	v_mul_f64 v[36:37], v[34:35], v[32:33]
	v_fma_f64 v[30:31], -v[30:31], v[36:37], v[34:35]
	v_div_fmas_f64 v[30:31], v[30:31], v[32:33], v[36:37]
	v_div_fixup_f64 v[32:33], v[30:31], v[2:3], v[0:1]
	v_fma_f64 v[30:31], v[0:1], v[32:33], v[2:3]
	v_div_scale_f64 v[34:35], s[72:73], v[30:31], v[30:31], 1.0
	v_rcp_f64_e32 v[36:37], v[34:35]
	s_nop 0
	v_fma_f64 v[38:39], -v[34:35], v[36:37], 1.0
	v_fmac_f64_e32 v[36:37], v[36:37], v[38:39]
	v_fma_f64 v[38:39], -v[34:35], v[36:37], 1.0
	v_fmac_f64_e32 v[36:37], v[36:37], v[38:39]
	v_div_scale_f64 v[38:39], vcc, 1.0, v[30:31], 1.0
	v_mul_f64 v[40:41], v[38:39], v[36:37]
	v_fma_f64 v[34:35], -v[34:35], v[40:41], v[38:39]
	s_nop 1
	v_div_fmas_f64 v[34:35], v[34:35], v[36:37], v[40:41]
	v_div_fixup_f64 v[34:35], v[34:35], v[30:31], 1.0
	s_waitcnt vmcnt(0)
	v_fma_f64 v[30:31], v[32:33], v[4:5], v[6:7]
	v_fma_f64 v[4:5], v[32:33], v[6:7], -v[4:5]
	v_mul_f64 v[30:31], v[30:31], v[34:35]
	v_mul_f64 v[32:33], v[34:35], v[4:5]
                                        ; implicit-def: $vgpr6_vgpr7
.LBB8_190:                              ;   in Loop: Header=BB8_6 Depth=1
	s_andn2_saveexec_b64 s[14:15], s[14:15]
	s_cbranch_execz .LBB8_192
; %bb.191:                              ;   in Loop: Header=BB8_6 Depth=1
	v_div_scale_f64 v[30:31], s[72:73], v[0:1], v[0:1], v[2:3]
	v_rcp_f64_e32 v[32:33], v[30:31]
	v_div_scale_f64 v[34:35], vcc, v[2:3], v[0:1], v[2:3]
	v_fma_f64 v[36:37], -v[30:31], v[32:33], 1.0
	v_fmac_f64_e32 v[32:33], v[32:33], v[36:37]
	v_fma_f64 v[36:37], -v[30:31], v[32:33], 1.0
	v_fmac_f64_e32 v[32:33], v[32:33], v[36:37]
	v_mul_f64 v[36:37], v[34:35], v[32:33]
	v_fma_f64 v[30:31], -v[30:31], v[36:37], v[34:35]
	v_div_fmas_f64 v[30:31], v[30:31], v[32:33], v[36:37]
	v_div_fixup_f64 v[32:33], v[30:31], v[0:1], v[2:3]
	v_fma_f64 v[30:31], v[2:3], v[32:33], v[0:1]
	v_div_scale_f64 v[34:35], s[72:73], v[30:31], v[30:31], 1.0
	v_rcp_f64_e32 v[36:37], v[34:35]
	s_nop 0
	v_fma_f64 v[38:39], -v[34:35], v[36:37], 1.0
	v_fmac_f64_e32 v[36:37], v[36:37], v[38:39]
	v_fma_f64 v[38:39], -v[34:35], v[36:37], 1.0
	v_fmac_f64_e32 v[36:37], v[36:37], v[38:39]
	v_div_scale_f64 v[38:39], vcc, 1.0, v[30:31], 1.0
	v_mul_f64 v[40:41], v[38:39], v[36:37]
	v_fma_f64 v[34:35], -v[34:35], v[40:41], v[38:39]
	s_nop 1
	v_div_fmas_f64 v[34:35], v[34:35], v[36:37], v[40:41]
	v_div_fixup_f64 v[34:35], v[34:35], v[30:31], 1.0
	s_waitcnt vmcnt(0)
	v_fma_f64 v[30:31], v[32:33], v[6:7], v[4:5]
	v_fma_f64 v[4:5], -v[32:33], v[4:5], v[6:7]
	v_mul_f64 v[30:31], v[34:35], v[30:31]
	v_mul_f64 v[32:33], v[4:5], v[34:35]
.LBB8_192:                              ;   in Loop: Header=BB8_6 Depth=1
	s_or_b64 exec, exec, s[14:15]
	global_load_dwordx4 v[4:7], v[26:27], off
                                        ; implicit-def: $vgpr34_vgpr35
                                        ; implicit-def: $vgpr36_vgpr37
	s_and_saveexec_b64 s[14:15], s[12:13]
	s_xor_b64 s[12:13], exec, s[14:15]
	s_cbranch_execz .LBB8_194
; %bb.193:                              ;   in Loop: Header=BB8_6 Depth=1
	v_div_scale_f64 v[34:35], s[14:15], v[2:3], v[2:3], v[0:1]
	v_rcp_f64_e32 v[36:37], v[34:35]
	v_div_scale_f64 v[38:39], vcc, v[0:1], v[2:3], v[0:1]
	v_fma_f64 v[40:41], -v[34:35], v[36:37], 1.0
	v_fmac_f64_e32 v[36:37], v[36:37], v[40:41]
	v_fma_f64 v[40:41], -v[34:35], v[36:37], 1.0
	v_fmac_f64_e32 v[36:37], v[36:37], v[40:41]
	v_mul_f64 v[40:41], v[38:39], v[36:37]
	v_fma_f64 v[34:35], -v[34:35], v[40:41], v[38:39]
	v_div_fmas_f64 v[34:35], v[34:35], v[36:37], v[40:41]
	v_div_fixup_f64 v[36:37], v[34:35], v[2:3], v[0:1]
	v_fma_f64 v[34:35], v[0:1], v[36:37], v[2:3]
	v_div_scale_f64 v[38:39], s[14:15], v[34:35], v[34:35], 1.0
	v_rcp_f64_e32 v[40:41], v[38:39]
	s_nop 0
	v_fma_f64 v[48:49], -v[38:39], v[40:41], 1.0
	v_fmac_f64_e32 v[40:41], v[40:41], v[48:49]
	v_fma_f64 v[48:49], -v[38:39], v[40:41], 1.0
	v_fmac_f64_e32 v[40:41], v[40:41], v[48:49]
	v_div_scale_f64 v[48:49], vcc, 1.0, v[34:35], 1.0
	v_mul_f64 v[50:51], v[48:49], v[40:41]
	v_fma_f64 v[38:39], -v[38:39], v[50:51], v[48:49]
	s_nop 1
	v_div_fmas_f64 v[38:39], v[38:39], v[40:41], v[50:51]
	v_div_fixup_f64 v[38:39], v[38:39], v[34:35], 1.0
	s_waitcnt vmcnt(0)
	v_fma_f64 v[34:35], v[36:37], v[4:5], v[6:7]
	v_fma_f64 v[4:5], v[36:37], v[6:7], -v[4:5]
	v_mul_f64 v[34:35], v[38:39], v[34:35]
	v_mul_f64 v[36:37], v[38:39], v[4:5]
                                        ; implicit-def: $vgpr6_vgpr7
.LBB8_194:                              ;   in Loop: Header=BB8_6 Depth=1
	s_andn2_saveexec_b64 s[12:13], s[12:13]
	s_cbranch_execz .LBB8_196
; %bb.195:                              ;   in Loop: Header=BB8_6 Depth=1
	v_div_scale_f64 v[34:35], s[14:15], v[0:1], v[0:1], v[2:3]
	v_rcp_f64_e32 v[36:37], v[34:35]
	v_div_scale_f64 v[38:39], vcc, v[2:3], v[0:1], v[2:3]
	v_fma_f64 v[40:41], -v[34:35], v[36:37], 1.0
	v_fmac_f64_e32 v[36:37], v[36:37], v[40:41]
	v_fma_f64 v[40:41], -v[34:35], v[36:37], 1.0
	v_fmac_f64_e32 v[36:37], v[36:37], v[40:41]
	v_mul_f64 v[40:41], v[38:39], v[36:37]
	v_fma_f64 v[34:35], -v[34:35], v[40:41], v[38:39]
	v_div_fmas_f64 v[34:35], v[34:35], v[36:37], v[40:41]
	v_div_fixup_f64 v[36:37], v[34:35], v[0:1], v[2:3]
	v_fma_f64 v[34:35], v[2:3], v[36:37], v[0:1]
	v_div_scale_f64 v[38:39], s[14:15], v[34:35], v[34:35], 1.0
	v_rcp_f64_e32 v[40:41], v[38:39]
	s_nop 0
	v_fma_f64 v[48:49], -v[38:39], v[40:41], 1.0
	v_fmac_f64_e32 v[40:41], v[40:41], v[48:49]
	v_fma_f64 v[48:49], -v[38:39], v[40:41], 1.0
	v_fmac_f64_e32 v[40:41], v[40:41], v[48:49]
	v_div_scale_f64 v[48:49], vcc, 1.0, v[34:35], 1.0
	v_mul_f64 v[50:51], v[48:49], v[40:41]
	v_fma_f64 v[38:39], -v[38:39], v[50:51], v[48:49]
	s_nop 1
	v_div_fmas_f64 v[38:39], v[38:39], v[40:41], v[50:51]
	v_div_fixup_f64 v[38:39], v[38:39], v[34:35], 1.0
	s_waitcnt vmcnt(0)
	v_fma_f64 v[34:35], v[36:37], v[6:7], v[4:5]
	v_fma_f64 v[4:5], -v[36:37], v[4:5], v[6:7]
	v_mul_f64 v[34:35], v[38:39], v[34:35]
	v_mul_f64 v[36:37], v[38:39], v[4:5]
.LBB8_196:                              ;   in Loop: Header=BB8_6 Depth=1
	s_or_b64 exec, exec, s[12:13]
	s_waitcnt vmcnt(0)
	v_mul_f64 v[4:5], v[32:33], v[36:37]
	v_mul_f64 v[38:39], v[32:33], v[34:35]
	v_fma_f64 v[4:5], v[30:31], v[34:35], -v[4:5]
	v_fmac_f64_e32 v[38:39], v[30:31], v[36:37]
	v_add_f64 v[6:7], v[4:5], -1.0
	v_mul_f64 v[4:5], v[2:3], v[38:39]
	v_fma_f64 v[4:5], v[0:1], v[6:7], -v[4:5]
	v_mul_f64 v[6:7], v[2:3], v[6:7]
	v_fmac_f64_e32 v[6:7], v[0:1], v[38:39]
	v_cmp_ngt_f64_e64 s[12:13], |v[4:5]|, |v[6:7]|
                                        ; implicit-def: $vgpr0_vgpr1
                                        ; implicit-def: $vgpr2_vgpr3
	s_and_saveexec_b64 s[14:15], s[12:13]
	s_xor_b64 s[12:13], exec, s[14:15]
	s_cbranch_execz .LBB8_198
; %bb.197:                              ;   in Loop: Header=BB8_6 Depth=1
	v_div_scale_f64 v[0:1], s[14:15], v[6:7], v[6:7], v[4:5]
	v_rcp_f64_e32 v[2:3], v[0:1]
	v_div_scale_f64 v[38:39], vcc, v[4:5], v[6:7], v[4:5]
	v_fma_f64 v[40:41], -v[0:1], v[2:3], 1.0
	v_fmac_f64_e32 v[2:3], v[2:3], v[40:41]
	v_fma_f64 v[40:41], -v[0:1], v[2:3], 1.0
	v_fmac_f64_e32 v[2:3], v[2:3], v[40:41]
	v_mul_f64 v[40:41], v[38:39], v[2:3]
	v_fma_f64 v[0:1], -v[0:1], v[40:41], v[38:39]
	v_div_fmas_f64 v[0:1], v[0:1], v[2:3], v[40:41]
	v_div_fixup_f64 v[2:3], v[0:1], v[6:7], v[4:5]
	v_fmac_f64_e32 v[6:7], v[4:5], v[2:3]
	v_div_scale_f64 v[0:1], s[14:15], v[6:7], v[6:7], 1.0
	v_rcp_f64_e32 v[4:5], v[0:1]
	s_nop 0
	v_fma_f64 v[38:39], -v[0:1], v[4:5], 1.0
	v_fmac_f64_e32 v[4:5], v[4:5], v[38:39]
	v_fma_f64 v[38:39], -v[0:1], v[4:5], 1.0
	v_fmac_f64_e32 v[4:5], v[4:5], v[38:39]
	v_div_scale_f64 v[38:39], vcc, 1.0, v[6:7], 1.0
	v_mul_f64 v[40:41], v[38:39], v[4:5]
	v_fma_f64 v[0:1], -v[0:1], v[40:41], v[38:39]
	s_nop 1
	v_div_fmas_f64 v[0:1], v[0:1], v[4:5], v[40:41]
	v_div_fixup_f64 v[4:5], v[0:1], v[6:7], 1.0
	v_add_f64 v[0:1], v[2:3], 0
	v_fma_f64 v[2:3], v[2:3], 0, -1.0
	v_mul_f64 v[0:1], v[0:1], v[4:5]
	v_mul_f64 v[2:3], v[2:3], v[4:5]
                                        ; implicit-def: $vgpr4_vgpr5
                                        ; implicit-def: $vgpr6_vgpr7
.LBB8_198:                              ;   in Loop: Header=BB8_6 Depth=1
	s_andn2_saveexec_b64 s[12:13], s[12:13]
	s_cbranch_execz .LBB8_200
; %bb.199:                              ;   in Loop: Header=BB8_6 Depth=1
	v_div_scale_f64 v[0:1], s[14:15], v[4:5], v[4:5], v[6:7]
	v_rcp_f64_e32 v[2:3], v[0:1]
	v_div_scale_f64 v[38:39], vcc, v[6:7], v[4:5], v[6:7]
	v_fma_f64 v[40:41], -v[0:1], v[2:3], 1.0
	v_fmac_f64_e32 v[2:3], v[2:3], v[40:41]
	v_fma_f64 v[40:41], -v[0:1], v[2:3], 1.0
	v_fmac_f64_e32 v[2:3], v[2:3], v[40:41]
	v_mul_f64 v[40:41], v[38:39], v[2:3]
	v_fma_f64 v[0:1], -v[0:1], v[40:41], v[38:39]
	v_div_fmas_f64 v[0:1], v[0:1], v[2:3], v[40:41]
	v_div_fixup_f64 v[2:3], v[0:1], v[4:5], v[6:7]
	v_fmac_f64_e32 v[4:5], v[6:7], v[2:3]
	v_div_scale_f64 v[0:1], s[14:15], v[4:5], v[4:5], 1.0
	v_rcp_f64_e32 v[6:7], v[0:1]
	s_nop 0
	v_fma_f64 v[38:39], -v[0:1], v[6:7], 1.0
	v_fmac_f64_e32 v[6:7], v[6:7], v[38:39]
	v_fma_f64 v[38:39], -v[0:1], v[6:7], 1.0
	v_fmac_f64_e32 v[6:7], v[6:7], v[38:39]
	v_div_scale_f64 v[38:39], vcc, 1.0, v[4:5], 1.0
	v_mul_f64 v[40:41], v[38:39], v[6:7]
	v_fma_f64 v[0:1], -v[0:1], v[40:41], v[38:39]
	s_nop 1
	v_div_fmas_f64 v[0:1], v[0:1], v[6:7], v[40:41]
	v_div_fixup_f64 v[4:5], v[0:1], v[4:5], 1.0
	v_fma_f64 v[0:1], v[2:3], 0, 1.0
	v_add_f64 v[2:3], -v[2:3], 0
	v_mul_f64 v[0:1], v[0:1], v[4:5]
	v_mul_f64 v[2:3], v[2:3], v[4:5]
.LBB8_200:                              ;   in Loop: Header=BB8_6 Depth=1
	s_or_b64 exec, exec, s[12:13]
	v_add_u32_e32 v29, v10, v14
	v_cmp_gt_i32_e32 vcc, s28, v29
	s_and_b64 exec, exec, vcc
	s_cbranch_execz .LBB8_203
; %bb.201:                              ;   in Loop: Header=BB8_6 Depth=1
	v_mul_lo_u32 v5, s76, v10
	v_mad_u64_u32 v[6:7], s[12:13], s78, v10, v[14:15]
	v_add_u32_e32 v38, v14, v5
	v_ashrrev_i32_e32 v7, 31, v6
	v_ashrrev_i32_e32 v39, 31, v38
	v_add_u32_e32 v16, v29, v16
	v_add_u32_e32 v4, v46, v5
	v_lshl_add_u64 v[6:7], v[6:7], 4, s[52:53]
	v_lshl_add_u64 v[38:39], v[38:39], 4, s[58:59]
	v_lshl_add_u64 v[40:41], v[16:17], 4, s[52:53]
	s_mov_b64 s[12:13], 0
.LBB8_202:                              ;   Parent Loop BB8_6 Depth=1
                                        ; =>  This Inner Loop Header: Depth=2
	global_load_dwordx4 v[48:51], v[6:7], off offset:-8
	global_load_dwordx4 v[52:55], v[40:41], off offset:-8
	v_add_u32_e32 v29, 0x100, v29
	v_ashrrev_i32_e32 v5, 31, v4
	v_cmp_le_i32_e32 vcc, s28, v29
	s_or_b64 s[12:13], vcc, s[12:13]
	s_waitcnt vmcnt(1)
	v_mul_f64 v[56:57], v[32:33], v[50:51]
	v_mul_f64 v[50:51], v[30:31], v[50:51]
	v_fma_f64 v[56:57], v[30:31], v[48:49], -v[56:57]
	v_fmac_f64_e32 v[50:51], v[32:33], v[48:49]
	s_waitcnt vmcnt(0)
	v_add_f64 v[48:49], v[56:57], -v[52:53]
	v_add_f64 v[52:53], v[50:51], -v[54:55]
	v_mul_f64 v[54:55], v[2:3], v[52:53]
	v_mul_f64 v[50:51], v[2:3], v[48:49]
	v_fma_f64 v[48:49], v[0:1], v[48:49], -v[54:55]
	v_fmac_f64_e32 v[50:51], v[0:1], v[52:53]
	global_store_dwordx4 v[38:39], v[48:51], off offset:-8
	global_load_dwordx4 v[48:51], v[40:41], off offset:-8
	s_nop 0
	global_load_dwordx4 v[52:55], v[6:7], off offset:-8
	v_lshl_add_u64 v[56:57], v[4:5], 4, s[24:25]
	v_add_u32_e32 v4, 0x100, v4
	v_lshl_add_u64 v[38:39], v[38:39], 0, s[62:63]
	v_lshl_add_u64 v[6:7], v[6:7], 0, s[62:63]
	;; [unrolled: 1-line block ×3, first 2 shown]
	s_waitcnt vmcnt(1)
	v_mul_f64 v[58:59], v[36:37], v[50:51]
	v_mul_f64 v[50:51], v[34:35], v[50:51]
	v_fma_f64 v[58:59], v[34:35], v[48:49], -v[58:59]
	v_fmac_f64_e32 v[50:51], v[36:37], v[48:49]
	s_waitcnt vmcnt(0)
	v_add_f64 v[48:49], v[58:59], -v[52:53]
	v_add_f64 v[52:53], v[50:51], -v[54:55]
	v_mul_f64 v[54:55], v[2:3], v[52:53]
	v_mul_f64 v[50:51], v[2:3], v[48:49]
	v_fma_f64 v[48:49], v[0:1], v[48:49], -v[54:55]
	v_fmac_f64_e32 v[50:51], v[0:1], v[52:53]
	global_store_dwordx4 v[56:57], v[48:51], off
	s_andn2_b64 exec, exec, s[12:13]
	s_cbranch_execnz .LBB8_202
.LBB8_203:                              ;   in Loop: Header=BB8_6 Depth=1
	s_or_b64 exec, exec, s[8:9]
	s_and_saveexec_b64 s[8:9], s[10:11]
	s_cbranch_execz .LBB8_205
; %bb.204:                              ;   in Loop: Header=BB8_6 Depth=1
	global_load_dwordx4 v[0:3], v[26:27], off
	v_mul_lo_u32 v6, v10, s27
	v_lshl_add_u64 v[4:5], v[10:11], 4, s[24:25]
	v_ashrrev_i32_e32 v7, 31, v6
	v_lshl_add_u64 v[4:5], v[6:7], 4, v[4:5]
	v_mul_lo_u32 v6, v47, s78
	v_ashrrev_i32_e32 v7, 31, v6
	s_waitcnt vmcnt(0)
	global_store_dwordx4 v[4:5], v[0:3], off
	global_load_dwordx4 v[0:3], v[26:27], off offset:16
	s_waitcnt vmcnt(0)
	global_store_dwordx4 v[4:5], v[0:3], off offset:16
	s_nop 1
	v_lshl_add_u64 v[0:1], v[6:7], 4, s[30:31]
	global_load_dwordx4 v[0:3], v[0:1], off
	v_mul_lo_u32 v4, v47, s76
	v_ashrrev_i32_e32 v5, 31, v4
	v_lshl_add_u64 v[4:5], v[4:5], 4, s[24:25]
	s_waitcnt vmcnt(0)
	global_store_dwordx4 v[4:5], v[0:3], off
.LBB8_205:                              ;   in Loop: Header=BB8_6 Depth=1
	s_or_b64 exec, exec, s[8:9]
	s_barrier
                                        ; implicit-def: $vgpr26_vgpr27
                                        ; implicit-def: $vgpr4_vgpr5
                                        ; implicit-def: $vgpr40
.LBB8_206:                              ;   in Loop: Header=BB8_6 Depth=1
	s_or_saveexec_b64 s[8:9], s[0:1]
	s_mov_b64 s[0:1], 0
	v_mov_b32_e32 v2, 2
	s_mov_b64 s[12:13], 0
	s_xor_b64 exec, exec, s[8:9]
	s_cbranch_execz .LBB8_217
; %bb.207:                              ;   in Loop: Header=BB8_6 Depth=1
	global_load_dwordx4 v[0:3], v[26:27], off
                                        ; implicit-def: $vgpr6_vgpr7
                                        ; implicit-def: $vgpr30_vgpr31
	s_waitcnt vmcnt(0)
	v_cmp_ngt_f64_e64 s[12:13], |v[0:1]|, |v[2:3]|
	s_and_saveexec_b64 s[14:15], s[12:13]
	s_xor_b64 s[12:13], exec, s[14:15]
	s_cbranch_execnz .LBB8_211
; %bb.208:                              ;   in Loop: Header=BB8_6 Depth=1
	s_andn2_saveexec_b64 s[12:13], s[12:13]
	s_cbranch_execnz .LBB8_212
.LBB8_209:                              ;   in Loop: Header=BB8_6 Depth=1
	s_or_b64 exec, exec, s[12:13]
	s_and_saveexec_b64 s[12:13], s[10:11]
	s_cbranch_execnz .LBB8_213
.LBB8_210:                              ;   in Loop: Header=BB8_6 Depth=1
	s_or_b64 exec, exec, s[12:13]
	s_and_saveexec_b64 s[12:13], s[6:7]
	s_cbranch_execnz .LBB8_214
	s_branch .LBB8_216
.LBB8_211:                              ;   in Loop: Header=BB8_6 Depth=1
	v_div_scale_f64 v[6:7], s[14:15], v[2:3], v[2:3], v[0:1]
	v_rcp_f64_e32 v[30:31], v[6:7]
	v_div_scale_f64 v[32:33], vcc, v[0:1], v[2:3], v[0:1]
	v_fma_f64 v[34:35], -v[6:7], v[30:31], 1.0
	v_fmac_f64_e32 v[30:31], v[30:31], v[34:35]
	v_fma_f64 v[34:35], -v[6:7], v[30:31], 1.0
	v_fmac_f64_e32 v[30:31], v[30:31], v[34:35]
	v_mul_f64 v[34:35], v[32:33], v[30:31]
	v_fma_f64 v[6:7], -v[6:7], v[34:35], v[32:33]
	v_div_fmas_f64 v[6:7], v[6:7], v[30:31], v[34:35]
	v_div_fixup_f64 v[30:31], v[6:7], v[2:3], v[0:1]
	v_fmac_f64_e32 v[2:3], v[0:1], v[30:31]
	v_div_scale_f64 v[0:1], s[14:15], v[2:3], v[2:3], 1.0
	v_rcp_f64_e32 v[6:7], v[0:1]
	s_nop 0
	v_fma_f64 v[32:33], -v[0:1], v[6:7], 1.0
	v_fmac_f64_e32 v[6:7], v[6:7], v[32:33]
	v_fma_f64 v[32:33], -v[0:1], v[6:7], 1.0
	v_fmac_f64_e32 v[6:7], v[6:7], v[32:33]
	v_div_scale_f64 v[32:33], vcc, 1.0, v[2:3], 1.0
	v_mul_f64 v[34:35], v[32:33], v[6:7]
	v_fma_f64 v[0:1], -v[0:1], v[34:35], v[32:33]
	s_nop 1
	v_div_fmas_f64 v[0:1], v[0:1], v[6:7], v[34:35]
	v_div_fixup_f64 v[0:1], v[0:1], v[2:3], 1.0
	v_add_f64 v[2:3], v[30:31], 0
	v_mul_f64 v[6:7], v[2:3], v[0:1]
	v_fma_f64 v[2:3], v[30:31], 0, -1.0
	v_mul_f64 v[30:31], v[2:3], v[0:1]
                                        ; implicit-def: $vgpr0_vgpr1
	s_andn2_saveexec_b64 s[12:13], s[12:13]
	s_cbranch_execz .LBB8_209
.LBB8_212:                              ;   in Loop: Header=BB8_6 Depth=1
	v_div_scale_f64 v[6:7], s[14:15], v[0:1], v[0:1], v[2:3]
	v_rcp_f64_e32 v[30:31], v[6:7]
	v_div_scale_f64 v[32:33], vcc, v[2:3], v[0:1], v[2:3]
	v_fma_f64 v[34:35], -v[6:7], v[30:31], 1.0
	v_fmac_f64_e32 v[30:31], v[30:31], v[34:35]
	v_fma_f64 v[34:35], -v[6:7], v[30:31], 1.0
	v_fmac_f64_e32 v[30:31], v[30:31], v[34:35]
	v_mul_f64 v[34:35], v[32:33], v[30:31]
	v_fma_f64 v[6:7], -v[6:7], v[34:35], v[32:33]
	v_div_fmas_f64 v[6:7], v[6:7], v[30:31], v[34:35]
	v_div_fixup_f64 v[30:31], v[6:7], v[0:1], v[2:3]
	v_fmac_f64_e32 v[0:1], v[2:3], v[30:31]
	v_div_scale_f64 v[2:3], s[14:15], v[0:1], v[0:1], 1.0
	v_rcp_f64_e32 v[6:7], v[2:3]
	s_nop 0
	v_fma_f64 v[32:33], -v[2:3], v[6:7], 1.0
	v_fmac_f64_e32 v[6:7], v[6:7], v[32:33]
	v_fma_f64 v[32:33], -v[2:3], v[6:7], 1.0
	v_fmac_f64_e32 v[6:7], v[6:7], v[32:33]
	v_div_scale_f64 v[32:33], vcc, 1.0, v[0:1], 1.0
	v_mul_f64 v[34:35], v[32:33], v[6:7]
	v_fma_f64 v[2:3], -v[2:3], v[34:35], v[32:33]
	s_nop 1
	v_div_fmas_f64 v[2:3], v[2:3], v[6:7], v[34:35]
	v_div_fixup_f64 v[0:1], v[2:3], v[0:1], 1.0
	v_fma_f64 v[2:3], v[30:31], 0, 1.0
	v_mul_f64 v[6:7], v[2:3], v[0:1]
	v_add_f64 v[2:3], -v[30:31], 0
	v_mul_f64 v[30:31], v[2:3], v[0:1]
	s_or_b64 exec, exec, s[12:13]
	s_and_saveexec_b64 s[12:13], s[10:11]
	s_cbranch_execz .LBB8_210
.LBB8_213:                              ;   in Loop: Header=BB8_6 Depth=1
	global_load_dwordx4 v[0:3], v[26:27], off
	v_mul_lo_u32 v26, v10, s76
	v_ashrrev_i32_e32 v27, 31, v26
	v_lshl_add_u64 v[26:27], v[26:27], 4, s[24:25]
	s_waitcnt vmcnt(0)
	global_store_dwordx4 v[26:27], v[0:3], off
	s_or_b64 exec, exec, s[12:13]
	s_and_saveexec_b64 s[12:13], s[6:7]
	s_cbranch_execz .LBB8_216
.LBB8_214:                              ;   in Loop: Header=BB8_6 Depth=1
	v_mul_lo_u32 v0, v10, s27
	v_ashrrev_i32_e32 v1, 31, v0
	s_mov_b64 s[6:7], 0
	v_mov_b32_e32 v2, v8
.LBB8_215:                              ;   Parent Loop BB8_6 Depth=1
                                        ; =>  This Inner Loop Header: Depth=2
	v_add_u32_e32 v16, v10, v2
	v_lshl_add_u64 v[26:27], v[16:17], 0, v[4:5]
	v_lshl_add_u64 v[26:27], v[26:27], 4, s[30:31]
	global_load_dwordx4 v[32:35], v[26:27], off offset:16
	v_add_u32_e32 v2, 0x100, v2
	v_lshl_add_u64 v[26:27], v[16:17], 0, v[0:1]
	v_cmp_ge_i32_e32 vcc, v2, v40
	v_lshl_add_u64 v[26:27], v[26:27], 4, s[24:25]
	s_or_b64 s[6:7], vcc, s[6:7]
	s_waitcnt vmcnt(0)
	v_mul_f64 v[38:39], v[30:31], v[34:35]
	v_mul_f64 v[36:37], v[6:7], v[34:35]
	v_fma_f64 v[34:35], v[6:7], v[32:33], -v[38:39]
	v_fmac_f64_e32 v[36:37], v[30:31], v[32:33]
	global_store_dwordx4 v[26:27], v[34:37], off offset:16
	s_andn2_b64 exec, exec, s[6:7]
	s_cbranch_execnz .LBB8_215
.LBB8_216:                              ;   in Loop: Header=BB8_6 Depth=1
	s_or_b64 exec, exec, s[12:13]
	s_mov_b64 s[12:13], exec
	v_mov_b32_e32 v2, 1
	s_barrier
.LBB8_217:                              ;   in Loop: Header=BB8_6 Depth=1
	s_or_b64 exec, exec, s[8:9]
	s_and_b64 vcc, exec, s[0:1]
	s_cbranch_vccz .LBB8_221
.LBB8_218:                              ;   in Loop: Header=BB8_6 Depth=1
	ds_read_b32 v0, v17 offset:3100
	s_waitcnt lgkmcnt(0)
	v_readfirstlane_b32 s0, v0
	s_cmp_eq_u32 s0, 0
	s_cselect_b64 s[0:1], -1, 0
	s_and_b64 s[6:7], s[10:11], s[0:1]
	s_and_saveexec_b64 s[0:1], s[6:7]
; %bb.219:                              ;   in Loop: Header=BB8_6 Depth=1
	ds_write_b32 v17, v47 offset:3100
; %bb.220:                              ;   in Loop: Header=BB8_6 Depth=1
	s_or_b64 exec, exec, s[0:1]
	v_mov_b32_e32 v2, 1
	s_mov_b64 s[12:13], -1
	v_mov_b32_e32 v28, v10
.LBB8_221:                              ;   in Loop: Header=BB8_6 Depth=1
	s_and_saveexec_b64 s[0:1], s[10:11]
	s_cbranch_execz .LBB8_4
; %bb.222:                              ;   in Loop: Header=BB8_6 Depth=1
	s_xor_b64 s[6:7], s[12:13], -1
	v_lshl_add_u64 v[0:1], v[10:11], 2, s[16:17]
	s_and_saveexec_b64 s[8:9], s[6:7]
	s_xor_b64 s[6:7], exec, s[8:9]
	s_cbranch_execz .LBB8_224
; %bb.223:                              ;   in Loop: Header=BB8_6 Depth=1
	v_not_b32_e32 v4, v28
	v_mov_b32_e32 v5, v4
	global_store_dwordx2 v[0:1], v[4:5], off
                                        ; implicit-def: $vgpr28
                                        ; implicit-def: $vgpr0_vgpr1
.LBB8_224:                              ;   in Loop: Header=BB8_6 Depth=1
	s_andn2_saveexec_b64 s[6:7], s[6:7]
	s_cbranch_execz .LBB8_4
; %bb.225:                              ;   in Loop: Header=BB8_6 Depth=1
	v_add_u32_e32 v3, 1, v28
	global_store_dword v[0:1], v3, off
	s_branch .LBB8_4
.LBB8_226:
	s_or_b64 exec, exec, s[60:61]
	s_and_saveexec_b64 s[0:1], s[10:11]
	s_cbranch_execz .LBB8_228
.LBB8_227:
	v_mov_b32_e32 v0, 0
	s_lshl_b64 s[2:3], s[36:37], 2
	ds_read_b32 v1, v0 offset:3100
	s_add_u32 s4, s20, s2
	s_addc_u32 s5, s21, s3
	s_add_u32 s2, s18, s2
	s_addc_u32 s3, s19, s3
	global_store_dword v0, v10, s[4:5]
	s_waitcnt lgkmcnt(0)
	global_store_dword v0, v1, s[2:3]
.LBB8_228:
	s_or_b64 exec, exec, s[0:1]
	v_cmp_gt_i32_e32 vcc, s28, v10
	s_and_saveexec_b64 s[2:3], vcc
	s_cbranch_execz .LBB8_249
; %bb.229:
	s_add_u32 s0, s40, s42
	v_ashrrev_i32_e32 v11, 31, v10
	s_addc_u32 s1, s41, s43
	v_lshlrev_b64 v[2:3], 4, v[10:11]
	v_lshl_add_u64 v[0:1], s[0:1], 0, v[2:3]
	s_ashr_i32 s1, s29, 31
	s_mov_b32 s0, s29
	s_lshl_b64 s[4:5], s[0:1], 4
	s_ashr_i32 s1, s27, 31
	s_mov_b32 s0, s27
	s_lshl_b64 s[6:7], s[0:1], 4
	v_mov_b32_e32 v13, 0
	s_add_u32 s0, s34, s38
	v_lshl_add_u64 v[0:1], v[0:1], 0, v[12:13]
	s_addc_u32 s1, s35, s39
	v_lshl_add_u64 v[0:1], s[22:23], 0, v[0:1]
	v_lshl_add_u64 v[2:3], s[0:1], 0, v[2:3]
	s_ashr_i32 s1, s28, 31
	s_mov_b32 s0, s28
	s_mov_b32 s12, 0
	v_cmp_ne_u32_e32 vcc, 0, v10
	v_lshl_add_u64 v[0:1], v[0:1], 0, 8
	v_lshl_add_u64 v[2:3], v[2:3], 0, 8
	s_lshl_b64 s[8:9], s[0:1], 4
	s_mov_b64 s[10:11], 0
	s_brev_b32 s13, 1
	s_mov_b64 s[14:15], 0x1000
	v_mov_b32_e32 v4, v10
	s_branch .LBB8_231
.LBB8_230:                              ;   in Loop: Header=BB8_231 Depth=1
	s_or_b64 exec, exec, s[18:19]
	v_add_u32_e32 v4, s29, v4
	v_cmp_le_i32_e64 s[0:1], s28, v4
	v_lshl_add_u64 v[0:1], v[0:1], 0, s[4:5]
	s_or_b64 s[10:11], s[0:1], s[10:11]
	v_lshl_add_u64 v[2:3], v[2:3], 0, s[4:5]
	s_andn2_b64 exec, exec, s[10:11]
	s_cbranch_execz .LBB8_249
.LBB8_231:                              ; =>This Loop Header: Depth=1
                                        ;     Child Loop BB8_234 Depth 2
                                        ;       Child Loop BB8_237 Depth 3
                                        ;         Child Loop BB8_239 Depth 4
                                        ;     Child Loop BB8_245 Depth 2
                                        ;       Child Loop BB8_247 Depth 3
	v_sub_u32_e32 v5, s28, v4
	v_min_i32_e32 v7, s29, v5
	v_add_u32_e32 v6, v7, v4
	v_cmp_lt_i32_e64 s[0:1], 0, v7
	s_and_saveexec_b64 s[18:19], s[0:1]
	s_cbranch_execz .LBB8_241
; %bb.232:                              ;   in Loop: Header=BB8_231 Depth=1
	s_mov_b64 s[20:21], 0
	v_mov_b64_e32 v[14:15], v[2:3]
	v_mov_b64_e32 v[16:17], v[0:1]
	v_mov_b32_e32 v18, v4
	s_branch .LBB8_234
.LBB8_233:                              ;   in Loop: Header=BB8_234 Depth=2
	s_or_b64 exec, exec, s[22:23]
	v_add_u32_e32 v18, 1, v18
	v_cmp_ge_i32_e64 s[0:1], v18, v6
	v_lshl_add_u64 v[16:17], v[16:17], 0, 16
	s_or_b64 s[20:21], s[0:1], s[20:21]
	v_lshl_add_u64 v[14:15], v[14:15], 0, 16
	s_andn2_b64 exec, exec, s[20:21]
	s_cbranch_execz .LBB8_241
.LBB8_234:                              ;   Parent Loop BB8_231 Depth=1
                                        ; =>  This Loop Header: Depth=2
                                        ;       Child Loop BB8_237 Depth 3
                                        ;         Child Loop BB8_239 Depth 4
	v_sub_u32_e32 v11, v6, v18
	v_cmp_lt_i32_e64 s[0:1], v8, v11
	s_and_saveexec_b64 s[22:23], s[0:1]
	s_cbranch_execz .LBB8_233
; %bb.235:                              ;   in Loop: Header=BB8_234 Depth=2
	v_ashrrev_i32_e32 v19, 31, v18
	v_mul_lo_u32 v22, v18, s27
	v_lshl_add_u64 v[20:21], v[18:19], 4, s[24:25]
	v_ashrrev_i32_e32 v23, 31, v22
	v_lshl_add_u64 v[20:21], v[22:23], 4, v[20:21]
	s_mov_b64 s[34:35], 0
	v_mov_b64_e32 v[22:23], v[16:17]
	v_mov_b32_e32 v12, v8
	s_branch .LBB8_237
.LBB8_236:                              ;   in Loop: Header=BB8_237 Depth=3
	s_or_b64 exec, exec, s[36:37]
	v_lshl_add_u64 v[32:33], v[12:13], 4, v[20:21]
	global_load_dwordx4 v[28:31], v[32:33], off
	v_fma_f64 v[34:35], v[24:25], s[12:13], -v[26:27]
	v_fma_f64 v[26:27], v[26:27], 0, -v[24:25]
	v_add_u32_e32 v12, 0x100, v12
	v_cmp_ge_i32_e64 s[0:1], v12, v11
	s_or_b64 s[34:35], s[0:1], s[34:35]
	v_lshl_add_u64 v[22:23], v[22:23], 0, s[14:15]
	s_waitcnt vmcnt(0)
	v_mov_b64_e32 v[24:25], v[28:29]
	v_fmac_f64_e32 v[24:25], 0x80000000, v[30:31]
	v_fmac_f64_e32 v[30:31], 0, v[28:29]
	v_add_f64 v[24:25], v[34:35], v[24:25]
	v_add_f64 v[26:27], v[26:27], v[30:31]
	global_store_dwordx4 v[32:33], v[24:27], off
	s_andn2_b64 exec, exec, s[34:35]
	s_cbranch_execz .LBB8_233
.LBB8_237:                              ;   Parent Loop BB8_231 Depth=1
                                        ;     Parent Loop BB8_234 Depth=2
                                        ; =>    This Loop Header: Depth=3
                                        ;         Child Loop BB8_239 Depth 4
	v_mov_b64_e32 v[24:25], 0
	v_mov_b64_e32 v[26:27], 0
	s_and_saveexec_b64 s[36:37], vcc
	s_cbranch_execz .LBB8_236
; %bb.238:                              ;   in Loop: Header=BB8_237 Depth=3
	v_mov_b64_e32 v[24:25], 0
	s_mov_b64 s[38:39], 0
	v_mov_b64_e32 v[28:29], v[14:15]
	v_mov_b64_e32 v[30:31], v[22:23]
	v_mov_b32_e32 v19, v10
	v_mov_b64_e32 v[26:27], 0
.LBB8_239:                              ;   Parent Loop BB8_231 Depth=1
                                        ;     Parent Loop BB8_234 Depth=2
                                        ;       Parent Loop BB8_237 Depth=3
                                        ; =>      This Inner Loop Header: Depth=4
	global_load_dwordx4 v[32:35], v[28:29], off offset:-8
	global_load_dwordx4 v[36:39], v[30:31], off offset:-8
	v_add_u32_e32 v19, -1, v19
	v_cmp_eq_u32_e64 s[0:1], 0, v19
	v_lshl_add_u64 v[30:31], v[30:31], 0, s[6:7]
	v_lshl_add_u64 v[28:29], v[28:29], 0, s[8:9]
	s_or_b64 s[38:39], s[0:1], s[38:39]
	s_waitcnt vmcnt(0)
	v_mul_f64 v[40:41], v[34:35], v[38:39]
	v_mul_f64 v[38:39], v[32:33], v[38:39]
	v_fma_f64 v[32:33], v[32:33], v[36:37], -v[40:41]
	v_fmac_f64_e32 v[38:39], v[34:35], v[36:37]
	v_add_f64 v[26:27], v[26:27], v[32:33]
	v_add_f64 v[24:25], v[24:25], v[38:39]
	s_andn2_b64 exec, exec, s[38:39]
	s_cbranch_execnz .LBB8_239
; %bb.240:                              ;   in Loop: Header=BB8_237 Depth=3
	s_or_b64 exec, exec, s[38:39]
	s_branch .LBB8_236
.LBB8_241:                              ;   in Loop: Header=BB8_231 Depth=1
	s_or_b64 exec, exec, s[18:19]
	v_cmp_gt_i32_e64 s[0:1], s28, v6
	s_and_saveexec_b64 s[18:19], s[0:1]
	s_cbranch_execz .LBB8_230
; %bb.242:                              ;   in Loop: Header=BB8_231 Depth=1
	v_sub_u32_e32 v11, v5, v7
	v_mul_lo_u32 v21, v11, v7
	v_cmp_lt_i32_e64 s[0:1], v8, v21
	s_and_b64 exec, exec, s[0:1]
	s_cbranch_execz .LBB8_230
; %bb.243:                              ;   in Loop: Header=BB8_231 Depth=1
	v_sub_u32_e32 v5, 0, v11
	v_max_i32_e32 v28, v11, v5
	v_cvt_f32_u32_e32 v12, v28
	v_ashrrev_i32_e32 v5, 31, v4
	v_lshl_add_u64 v[14:15], v[4:5], 4, s[30:31]
	v_ashrrev_i32_e32 v7, 31, v6
	v_rcp_iflag_f32_e32 v12, v12
	v_mul_lo_u32 v16, v4, s27
	v_lshl_add_u64 v[6:7], v[6:7], 4, s[24:25]
	v_ashrrev_i32_e32 v17, 31, v16
	v_mul_f32_e32 v5, 0x4f7ffffe, v12
	v_cvt_u32_f32_e32 v5, v5
	v_sub_u32_e32 v12, 0, v28
	v_ashrrev_i32_e32 v29, 31, v11
	v_lshl_add_u64 v[16:17], v[16:17], 4, v[6:7]
	v_mul_lo_u32 v12, v12, v5
	v_mul_hi_u32 v12, v5, v12
	v_add_u32_e32 v12, v5, v12
	s_mov_b64 s[20:21], 0
	v_mov_b32_e32 v5, v8
	s_branch .LBB8_245
.LBB8_244:                              ;   in Loop: Header=BB8_245 Depth=2
	s_or_b64 exec, exec, s[22:23]
	v_mad_u64_u32 v[24:25], s[0:1], v30, s27, v[20:21]
	v_ashrrev_i32_e32 v25, 31, v24
	v_lshl_add_u64 v[30:31], v[24:25], 4, v[16:17]
	global_load_dwordx4 v[24:27], v[30:31], off
	v_fma_f64 v[32:33], v[18:19], s[12:13], -v[22:23]
	v_fma_f64 v[18:19], v[22:23], 0, -v[18:19]
	v_add_u32_e32 v5, 0x100, v5
	v_cmp_ge_i32_e64 s[0:1], v5, v21
	s_or_b64 s[20:21], s[0:1], s[20:21]
	s_waitcnt vmcnt(0)
	v_mov_b64_e32 v[22:23], v[24:25]
	v_fmac_f64_e32 v[22:23], 0x80000000, v[26:27]
	v_fmac_f64_e32 v[26:27], 0, v[24:25]
	v_add_f64 v[22:23], v[32:33], v[22:23]
	v_add_f64 v[24:25], v[18:19], v[26:27]
	global_store_dwordx4 v[30:31], v[22:25], off
	s_andn2_b64 exec, exec, s[20:21]
	s_cbranch_execz .LBB8_230
.LBB8_245:                              ;   Parent Loop BB8_231 Depth=1
                                        ; =>  This Loop Header: Depth=2
                                        ;       Child Loop BB8_247 Depth 3
	v_mul_hi_u32 v18, v5, v12
	v_mul_lo_u32 v19, v18, v28
	v_sub_u32_e32 v19, v5, v19
	v_add_u32_e32 v20, 1, v18
	v_cmp_ge_u32_e64 s[0:1], v19, v28
	v_mov_b64_e32 v[22:23], 0
	s_nop 0
	v_cndmask_b32_e64 v18, v18, v20, s[0:1]
	v_sub_u32_e32 v20, v19, v28
	v_cndmask_b32_e64 v19, v19, v20, s[0:1]
	v_add_u32_e32 v20, 1, v18
	v_cmp_ge_u32_e64 s[0:1], v19, v28
	s_nop 1
	v_cndmask_b32_e64 v18, v18, v20, s[0:1]
	v_xor_b32_e32 v18, v18, v29
	v_sub_u32_e32 v30, v18, v29
	v_mul_lo_u32 v18, v30, v11
	v_sub_u32_e32 v20, v5, v18
	v_mov_b64_e32 v[18:19], 0
	s_and_saveexec_b64 s[22:23], vcc
	s_cbranch_execz .LBB8_244
; %bb.246:                              ;   in Loop: Header=BB8_245 Depth=2
	v_mov_b64_e32 v[18:19], 0
	s_mov_b64 s[34:35], 0
	v_mov_b32_e32 v24, v20
	v_mov_b32_e32 v26, v30
	;; [unrolled: 1-line block ×3, first 2 shown]
	v_mov_b64_e32 v[22:23], 0
.LBB8_247:                              ;   Parent Loop BB8_231 Depth=1
                                        ;     Parent Loop BB8_245 Depth=2
                                        ; =>    This Inner Loop Header: Depth=3
	v_ashrrev_i32_e32 v27, 31, v26
	v_ashrrev_i32_e32 v25, 31, v24
	v_lshl_add_u64 v[44:45], v[26:27], 4, v[14:15]
	v_lshl_add_u64 v[40:41], v[24:25], 4, v[6:7]
	global_load_dwordx4 v[32:35], v[44:45], off
	global_load_dwordx4 v[36:39], v[40:41], off
	v_add_u32_e32 v31, -1, v31
	v_cmp_eq_u32_e64 s[0:1], 0, v31
	v_add_u32_e32 v26, s28, v26
	s_or_b64 s[34:35], s[0:1], s[34:35]
	v_add_u32_e32 v24, s27, v24
	s_waitcnt vmcnt(0)
	v_mul_f64 v[40:41], v[34:35], v[38:39]
	v_mul_f64 v[38:39], v[32:33], v[38:39]
	v_fma_f64 v[32:33], v[32:33], v[36:37], -v[40:41]
	v_fmac_f64_e32 v[38:39], v[34:35], v[36:37]
	v_add_f64 v[22:23], v[22:23], v[32:33]
	v_add_f64 v[18:19], v[18:19], v[38:39]
	s_andn2_b64 exec, exec, s[34:35]
	s_cbranch_execnz .LBB8_247
; %bb.248:                              ;   in Loop: Header=BB8_245 Depth=2
	s_or_b64 exec, exec, s[34:35]
	s_branch .LBB8_244
.LBB8_249:
	s_or_b64 exec, exec, s[2:3]
	v_cmp_lt_i32_e32 vcc, 1, v10
	s_waitcnt lgkmcnt(0)
	s_barrier
	s_and_saveexec_b64 s[0:1], vcc
	s_cbranch_execz .LBB8_257
; %bb.250:
	v_mov_b32_e32 v0, 0x2c20
	v_lshl_add_u32 v4, v42, 4, v0
	s_lshl_b32 s6, s27, 8
	s_mov_b64 s[2:3], 0
	v_mov_b32_e32 v1, 0
	s_branch .LBB8_253
.LBB8_251:                              ;   in Loop: Header=BB8_253 Depth=1
	s_waitcnt lgkmcnt(0)
	s_barrier
.LBB8_252:                              ;   in Loop: Header=BB8_253 Depth=1
	s_or_b64 exec, exec, s[0:1]
	v_cmp_gt_u32_e32 vcc, 2, v5
	s_or_b64 s[2:3], vcc, s[2:3]
	v_mov_b32_e32 v10, v5
	s_andn2_b64 exec, exec, s[2:3]
	s_cbranch_execz .LBB8_257
.LBB8_253:                              ; =>This Loop Header: Depth=1
                                        ;     Child Loop BB8_256 Depth 2
	v_add_u32_e32 v0, -1, v10
	v_lshl_add_u64 v[2:3], v[0:1], 2, s[16:17]
	global_load_dword v2, v[2:3], off
	v_add_u32_e32 v3, -2, v10
	s_waitcnt vmcnt(0)
	v_not_b32_e32 v5, v2
	v_add_u32_e32 v6, -1, v2
	v_cmp_gt_i32_e32 vcc, 0, v2
	s_nop 1
	v_cndmask_b32_e32 v6, v6, v5, vcc
	v_cndmask_b32_e32 v5, v0, v3, vcc
	v_cmp_ne_u32_e32 vcc, v6, v0
	v_cmp_ne_u32_e64 s[0:1], 0, v5
	s_and_b64 s[4:5], vcc, s[0:1]
	s_and_saveexec_b64 s[0:1], s[4:5]
	s_cbranch_execz .LBB8_252
; %bb.254:                              ;   in Loop: Header=BB8_253 Depth=1
	v_cmp_lt_i32_e32 vcc, v8, v5
	s_and_b64 exec, exec, vcc
	s_cbranch_execz .LBB8_251
; %bb.255:                              ;   in Loop: Header=BB8_253 Depth=1
	v_ashrrev_i32_e32 v11, 31, v10
	s_mov_b64 s[4:5], 0
	v_mov_b32_e32 v2, v9
	v_mov_b32_e32 v0, v8
.LBB8_256:                              ;   Parent Loop BB8_253 Depth=1
                                        ; =>  This Inner Loop Header: Depth=2
	v_add_u32_e32 v12, v6, v2
	v_ashrrev_i32_e32 v3, 31, v2
	v_ashrrev_i32_e32 v13, 31, v12
	v_lshl_add_u64 v[14:15], v[2:3], 0, v[10:11]
	v_lshl_add_u64 v[20:21], v[12:13], 4, s[24:25]
	;; [unrolled: 1-line block ×3, first 2 shown]
	global_load_dwordx4 v[12:15], v[20:21], off
	global_load_dwordx4 v[16:19], v[22:23], off offset:-16
	v_add_u32_e32 v0, 0x100, v0
	v_cmp_ge_i32_e32 vcc, v0, v5
	v_add_u32_e32 v2, s6, v2
	s_or_b64 s[4:5], vcc, s[4:5]
	s_waitcnt vmcnt(1)
	ds_write2_b64 v4, v[12:13], v[14:15] offset1:1
	s_waitcnt vmcnt(0)
	global_store_dwordx4 v[20:21], v[16:19], off
	global_store_dwordx4 v[22:23], v[12:15], off offset:-16
	s_andn2_b64 exec, exec, s[4:5]
	s_cbranch_execnz .LBB8_256
	s_branch .LBB8_251
.LBB8_257:
	s_endpgm
.LBB8_258:
	v_mov_b32_e32 v10, 0
	s_and_saveexec_b64 s[0:1], s[10:11]
	s_cbranch_execnz .LBB8_227
	s_branch .LBB8_228
	.section	.rodata,"a",@progbits
	.p2align	6, 0x0
	.amdhsa_kernel _ZN9rocsolver6v33100L18lasyf_kernel_lowerI19rocblas_complex_numIdEPS3_EEviiPiT0_iilS5_lS5_PT_
		.amdhsa_group_segment_fixed_size 15392
		.amdhsa_private_segment_fixed_size 0
		.amdhsa_kernarg_size 72
		.amdhsa_user_sgpr_count 4
		.amdhsa_user_sgpr_dispatch_ptr 1
		.amdhsa_user_sgpr_queue_ptr 0
		.amdhsa_user_sgpr_kernarg_segment_ptr 1
		.amdhsa_user_sgpr_dispatch_id 0
		.amdhsa_user_sgpr_kernarg_preload_length 0
		.amdhsa_user_sgpr_kernarg_preload_offset 0
		.amdhsa_user_sgpr_private_segment_size 0
		.amdhsa_uses_dynamic_stack 0
		.amdhsa_enable_private_segment 0
		.amdhsa_system_sgpr_workgroup_id_x 1
		.amdhsa_system_sgpr_workgroup_id_y 1
		.amdhsa_system_sgpr_workgroup_id_z 0
		.amdhsa_system_sgpr_workgroup_info 0
		.amdhsa_system_vgpr_workitem_id 2
		.amdhsa_next_free_vgpr 60
		.amdhsa_next_free_sgpr 82
		.amdhsa_accum_offset 60
		.amdhsa_reserve_vcc 1
		.amdhsa_float_round_mode_32 0
		.amdhsa_float_round_mode_16_64 0
		.amdhsa_float_denorm_mode_32 3
		.amdhsa_float_denorm_mode_16_64 3
		.amdhsa_dx10_clamp 1
		.amdhsa_ieee_mode 1
		.amdhsa_fp16_overflow 0
		.amdhsa_tg_split 0
		.amdhsa_exception_fp_ieee_invalid_op 0
		.amdhsa_exception_fp_denorm_src 0
		.amdhsa_exception_fp_ieee_div_zero 0
		.amdhsa_exception_fp_ieee_overflow 0
		.amdhsa_exception_fp_ieee_underflow 0
		.amdhsa_exception_fp_ieee_inexact 0
		.amdhsa_exception_int_div_zero 0
	.end_amdhsa_kernel
	.section	.text._ZN9rocsolver6v33100L18lasyf_kernel_lowerI19rocblas_complex_numIdEPS3_EEviiPiT0_iilS5_lS5_PT_,"axG",@progbits,_ZN9rocsolver6v33100L18lasyf_kernel_lowerI19rocblas_complex_numIdEPS3_EEviiPiT0_iilS5_lS5_PT_,comdat
.Lfunc_end8:
	.size	_ZN9rocsolver6v33100L18lasyf_kernel_lowerI19rocblas_complex_numIdEPS3_EEviiPiT0_iilS5_lS5_PT_, .Lfunc_end8-_ZN9rocsolver6v33100L18lasyf_kernel_lowerI19rocblas_complex_numIdEPS3_EEviiPiT0_iilS5_lS5_PT_
                                        ; -- End function
	.set _ZN9rocsolver6v33100L18lasyf_kernel_lowerI19rocblas_complex_numIdEPS3_EEviiPiT0_iilS5_lS5_PT_.num_vgpr, 60
	.set _ZN9rocsolver6v33100L18lasyf_kernel_lowerI19rocblas_complex_numIdEPS3_EEviiPiT0_iilS5_lS5_PT_.num_agpr, 0
	.set _ZN9rocsolver6v33100L18lasyf_kernel_lowerI19rocblas_complex_numIdEPS3_EEviiPiT0_iilS5_lS5_PT_.numbered_sgpr, 82
	.set _ZN9rocsolver6v33100L18lasyf_kernel_lowerI19rocblas_complex_numIdEPS3_EEviiPiT0_iilS5_lS5_PT_.num_named_barrier, 0
	.set _ZN9rocsolver6v33100L18lasyf_kernel_lowerI19rocblas_complex_numIdEPS3_EEviiPiT0_iilS5_lS5_PT_.private_seg_size, 0
	.set _ZN9rocsolver6v33100L18lasyf_kernel_lowerI19rocblas_complex_numIdEPS3_EEviiPiT0_iilS5_lS5_PT_.uses_vcc, 1
	.set _ZN9rocsolver6v33100L18lasyf_kernel_lowerI19rocblas_complex_numIdEPS3_EEviiPiT0_iilS5_lS5_PT_.uses_flat_scratch, 0
	.set _ZN9rocsolver6v33100L18lasyf_kernel_lowerI19rocblas_complex_numIdEPS3_EEviiPiT0_iilS5_lS5_PT_.has_dyn_sized_stack, 0
	.set _ZN9rocsolver6v33100L18lasyf_kernel_lowerI19rocblas_complex_numIdEPS3_EEviiPiT0_iilS5_lS5_PT_.has_recursion, 0
	.set _ZN9rocsolver6v33100L18lasyf_kernel_lowerI19rocblas_complex_numIdEPS3_EEviiPiT0_iilS5_lS5_PT_.has_indirect_call, 0
	.section	.AMDGPU.csdata,"",@progbits
; Kernel info:
; codeLenInByte = 11152
; TotalNumSgprs: 88
; NumVgprs: 60
; NumAgprs: 0
; TotalNumVgprs: 60
; ScratchSize: 0
; MemoryBound: 0
; FloatMode: 240
; IeeeMode: 1
; LDSByteSize: 15392 bytes/workgroup (compile time only)
; SGPRBlocks: 10
; VGPRBlocks: 7
; NumSGPRsForWavesPerEU: 88
; NumVGPRsForWavesPerEU: 60
; AccumOffset: 60
; Occupancy: 8
; WaveLimiterHint : 1
; COMPUTE_PGM_RSRC2:SCRATCH_EN: 0
; COMPUTE_PGM_RSRC2:USER_SGPR: 4
; COMPUTE_PGM_RSRC2:TRAP_HANDLER: 0
; COMPUTE_PGM_RSRC2:TGID_X_EN: 1
; COMPUTE_PGM_RSRC2:TGID_Y_EN: 1
; COMPUTE_PGM_RSRC2:TGID_Z_EN: 0
; COMPUTE_PGM_RSRC2:TIDIG_COMP_CNT: 2
; COMPUTE_PGM_RSRC3_GFX90A:ACCUM_OFFSET: 14
; COMPUTE_PGM_RSRC3_GFX90A:TG_SPLIT: 0
	.section	.AMDGPU.gpr_maximums,"",@progbits
	.set amdgpu.max_num_vgpr, 0
	.set amdgpu.max_num_agpr, 0
	.set amdgpu.max_num_sgpr, 0
	.section	.AMDGPU.csdata,"",@progbits
	.type	__hip_cuid_c9d5328b3c45d044,@object ; @__hip_cuid_c9d5328b3c45d044
	.section	.bss,"aw",@nobits
	.globl	__hip_cuid_c9d5328b3c45d044
__hip_cuid_c9d5328b3c45d044:
	.byte	0                               ; 0x0
	.size	__hip_cuid_c9d5328b3c45d044, 1

	.ident	"AMD clang version 22.0.0git (https://github.com/RadeonOpenCompute/llvm-project roc-7.2.4 26084 f58b06dce1f9c15707c5f808fd002e18c2accf7e)"
	.section	".note.GNU-stack","",@progbits
	.addrsig
	.addrsig_sym __hip_cuid_c9d5328b3c45d044
	.amdgpu_metadata
---
amdhsa.kernels:
  - .agpr_count:     0
    .args:
      - .address_space:  global
        .offset:         0
        .size:           8
        .value_kind:     global_buffer
      - .offset:         8
        .size:           4
        .value_kind:     by_value
      - .offset:         12
        .size:           4
        .value_kind:     by_value
      - .offset:         16
        .size:           4
        .value_kind:     by_value
      - .offset:         24
        .size:           4
        .value_kind:     hidden_block_count_x
      - .offset:         28
        .size:           4
        .value_kind:     hidden_block_count_y
      - .offset:         32
        .size:           4
        .value_kind:     hidden_block_count_z
      - .offset:         36
        .size:           2
        .value_kind:     hidden_group_size_x
      - .offset:         38
        .size:           2
        .value_kind:     hidden_group_size_y
      - .offset:         40
        .size:           2
        .value_kind:     hidden_group_size_z
      - .offset:         42
        .size:           2
        .value_kind:     hidden_remainder_x
      - .offset:         44
        .size:           2
        .value_kind:     hidden_remainder_y
      - .offset:         46
        .size:           2
        .value_kind:     hidden_remainder_z
      - .offset:         64
        .size:           8
        .value_kind:     hidden_global_offset_x
      - .offset:         72
        .size:           8
        .value_kind:     hidden_global_offset_y
      - .offset:         80
        .size:           8
        .value_kind:     hidden_global_offset_z
      - .offset:         88
        .size:           2
        .value_kind:     hidden_grid_dims
    .group_segment_fixed_size: 0
    .kernarg_segment_align: 8
    .kernarg_segment_size: 280
    .language:       OpenCL C
    .language_version:
      - 2
      - 0
    .max_flat_workgroup_size: 1024
    .name:           _ZN9rocsolver6v33100L10reset_infoIiiiEEvPT_T0_T1_S4_
    .private_segment_fixed_size: 0
    .sgpr_count:     14
    .sgpr_spill_count: 0
    .symbol:         _ZN9rocsolver6v33100L10reset_infoIiiiEEvPT_T0_T1_S4_.kd
    .uniform_work_group_size: 1
    .uses_dynamic_stack: false
    .vgpr_count:     3
    .vgpr_spill_count: 0
    .wavefront_size: 64
  - .agpr_count:     0
    .args:
      - .offset:         0
        .size:           4
        .value_kind:     by_value
      - .offset:         4
        .size:           4
        .value_kind:     by_value
      - .address_space:  global
        .offset:         8
        .size:           8
        .value_kind:     global_buffer
      - .address_space:  global
        .offset:         16
        .size:           8
        .value_kind:     global_buffer
      - .offset:         24
        .size:           4
        .value_kind:     by_value
      - .offset:         28
        .size:           4
        .value_kind:     by_value
      - .offset:         32
        .size:           8
        .value_kind:     by_value
      - .address_space:  global
        .offset:         40
        .size:           8
        .value_kind:     global_buffer
      - .offset:         48
        .size:           8
        .value_kind:     by_value
      - .address_space:  global
        .offset:         56
        .size:           8
        .value_kind:     global_buffer
      - .address_space:  global
        .offset:         64
        .size:           8
        .value_kind:     global_buffer
    .group_segment_fixed_size: 2068
    .kernarg_segment_align: 8
    .kernarg_segment_size: 72
    .language:       OpenCL C
    .language_version:
      - 2
      - 0
    .max_flat_workgroup_size: 256
    .name:           _ZN9rocsolver6v33100L18lasyf_kernel_upperIfPfEEviiPiT0_iilS3_lS3_PT_
    .private_segment_fixed_size: 0
    .sgpr_count:     79
    .sgpr_spill_count: 0
    .symbol:         _ZN9rocsolver6v33100L18lasyf_kernel_upperIfPfEEviiPiT0_iilS3_lS3_PT_.kd
    .uniform_work_group_size: 1
    .uses_dynamic_stack: false
    .vgpr_count:     31
    .vgpr_spill_count: 0
    .wavefront_size: 64
  - .agpr_count:     0
    .args:
      - .offset:         0
        .size:           4
        .value_kind:     by_value
      - .offset:         4
        .size:           4
        .value_kind:     by_value
      - .address_space:  global
        .offset:         8
        .size:           8
        .value_kind:     global_buffer
      - .address_space:  global
        .offset:         16
        .size:           8
        .value_kind:     global_buffer
      - .offset:         24
        .size:           4
        .value_kind:     by_value
      - .offset:         28
        .size:           4
        .value_kind:     by_value
      - .offset:         32
        .size:           8
        .value_kind:     by_value
      - .address_space:  global
        .offset:         40
        .size:           8
        .value_kind:     global_buffer
      - .offset:         48
        .size:           8
        .value_kind:     by_value
      - .address_space:  global
        .offset:         56
        .size:           8
        .value_kind:     global_buffer
      - .address_space:  global
        .offset:         64
        .size:           8
        .value_kind:     global_buffer
    .group_segment_fixed_size: 2068
    .kernarg_segment_align: 8
    .kernarg_segment_size: 72
    .language:       OpenCL C
    .language_version:
      - 2
      - 0
    .max_flat_workgroup_size: 256
    .name:           _ZN9rocsolver6v33100L18lasyf_kernel_lowerIfPfEEviiPiT0_iilS3_lS3_PT_
    .private_segment_fixed_size: 0
    .sgpr_count:     79
    .sgpr_spill_count: 0
    .symbol:         _ZN9rocsolver6v33100L18lasyf_kernel_lowerIfPfEEviiPiT0_iilS3_lS3_PT_.kd
    .uniform_work_group_size: 1
    .uses_dynamic_stack: false
    .vgpr_count:     44
    .vgpr_spill_count: 0
    .wavefront_size: 64
  - .agpr_count:     0
    .args:
      - .offset:         0
        .size:           4
        .value_kind:     by_value
      - .offset:         4
        .size:           4
        .value_kind:     by_value
      - .address_space:  global
        .offset:         8
        .size:           8
        .value_kind:     global_buffer
      - .address_space:  global
        .offset:         16
        .size:           8
        .value_kind:     global_buffer
      - .offset:         24
        .size:           4
        .value_kind:     by_value
      - .offset:         28
        .size:           4
        .value_kind:     by_value
      - .offset:         32
        .size:           8
        .value_kind:     by_value
      - .address_space:  global
        .offset:         40
        .size:           8
        .value_kind:     global_buffer
      - .offset:         48
        .size:           8
        .value_kind:     by_value
      - .address_space:  global
        .offset:         56
        .size:           8
        .value_kind:     global_buffer
      - .address_space:  global
        .offset:         64
        .size:           8
        .value_kind:     global_buffer
    .group_segment_fixed_size: 3104
    .kernarg_segment_align: 8
    .kernarg_segment_size: 72
    .language:       OpenCL C
    .language_version:
      - 2
      - 0
    .max_flat_workgroup_size: 256
    .name:           _ZN9rocsolver6v33100L18lasyf_kernel_upperIdPdEEviiPiT0_iilS3_lS3_PT_
    .private_segment_fixed_size: 0
    .sgpr_count:     81
    .sgpr_spill_count: 0
    .symbol:         _ZN9rocsolver6v33100L18lasyf_kernel_upperIdPdEEviiPiT0_iilS3_lS3_PT_.kd
    .uniform_work_group_size: 1
    .uses_dynamic_stack: false
    .vgpr_count:     42
    .vgpr_spill_count: 0
    .wavefront_size: 64
  - .agpr_count:     0
    .args:
      - .offset:         0
        .size:           4
        .value_kind:     by_value
      - .offset:         4
        .size:           4
        .value_kind:     by_value
      - .address_space:  global
        .offset:         8
        .size:           8
        .value_kind:     global_buffer
      - .address_space:  global
        .offset:         16
        .size:           8
        .value_kind:     global_buffer
      - .offset:         24
        .size:           4
        .value_kind:     by_value
      - .offset:         28
        .size:           4
        .value_kind:     by_value
      - .offset:         32
        .size:           8
        .value_kind:     by_value
      - .address_space:  global
        .offset:         40
        .size:           8
        .value_kind:     global_buffer
      - .offset:         48
        .size:           8
        .value_kind:     by_value
      - .address_space:  global
        .offset:         56
        .size:           8
        .value_kind:     global_buffer
      - .address_space:  global
        .offset:         64
        .size:           8
        .value_kind:     global_buffer
    .group_segment_fixed_size: 3104
    .kernarg_segment_align: 8
    .kernarg_segment_size: 72
    .language:       OpenCL C
    .language_version:
      - 2
      - 0
    .max_flat_workgroup_size: 256
    .name:           _ZN9rocsolver6v33100L18lasyf_kernel_lowerIdPdEEviiPiT0_iilS3_lS3_PT_
    .private_segment_fixed_size: 0
    .sgpr_count:     81
    .sgpr_spill_count: 0
    .symbol:         _ZN9rocsolver6v33100L18lasyf_kernel_lowerIdPdEEviiPiT0_iilS3_lS3_PT_.kd
    .uniform_work_group_size: 1
    .uses_dynamic_stack: false
    .vgpr_count:     56
    .vgpr_spill_count: 0
    .wavefront_size: 64
  - .agpr_count:     0
    .args:
      - .offset:         0
        .size:           4
        .value_kind:     by_value
      - .offset:         4
        .size:           4
        .value_kind:     by_value
      - .address_space:  global
        .offset:         8
        .size:           8
        .value_kind:     global_buffer
      - .address_space:  global
        .offset:         16
        .size:           8
        .value_kind:     global_buffer
      - .offset:         24
        .size:           4
        .value_kind:     by_value
      - .offset:         28
        .size:           4
        .value_kind:     by_value
      - .offset:         32
        .size:           8
        .value_kind:     by_value
      - .address_space:  global
        .offset:         40
        .size:           8
        .value_kind:     global_buffer
      - .offset:         48
        .size:           8
        .value_kind:     by_value
      - .address_space:  global
        .offset:         56
        .size:           8
        .value_kind:     global_buffer
      - .address_space:  global
        .offset:         64
        .size:           8
        .value_kind:     global_buffer
    .group_segment_fixed_size: 2068
    .kernarg_segment_align: 8
    .kernarg_segment_size: 72
    .language:       OpenCL C
    .language_version:
      - 2
      - 0
    .max_flat_workgroup_size: 256
    .name:           _ZN9rocsolver6v33100L18lasyf_kernel_upperI19rocblas_complex_numIfEPS3_EEviiPiT0_iilS5_lS5_PT_
    .private_segment_fixed_size: 0
    .sgpr_count:     82
    .sgpr_spill_count: 0
    .symbol:         _ZN9rocsolver6v33100L18lasyf_kernel_upperI19rocblas_complex_numIfEPS3_EEviiPiT0_iilS5_lS5_PT_.kd
    .uniform_work_group_size: 1
    .uses_dynamic_stack: false
    .vgpr_count:     44
    .vgpr_spill_count: 0
    .wavefront_size: 64
  - .agpr_count:     0
    .args:
      - .offset:         0
        .size:           4
        .value_kind:     by_value
      - .offset:         4
        .size:           4
        .value_kind:     by_value
      - .address_space:  global
        .offset:         8
        .size:           8
        .value_kind:     global_buffer
      - .address_space:  global
        .offset:         16
        .size:           8
        .value_kind:     global_buffer
      - .offset:         24
        .size:           4
        .value_kind:     by_value
      - .offset:         28
        .size:           4
        .value_kind:     by_value
      - .offset:         32
        .size:           8
        .value_kind:     by_value
      - .address_space:  global
        .offset:         40
        .size:           8
        .value_kind:     global_buffer
      - .offset:         48
        .size:           8
        .value_kind:     by_value
      - .address_space:  global
        .offset:         56
        .size:           8
        .value_kind:     global_buffer
      - .address_space:  global
        .offset:         64
        .size:           8
        .value_kind:     global_buffer
    .group_segment_fixed_size: 2068
    .kernarg_segment_align: 8
    .kernarg_segment_size: 72
    .language:       OpenCL C
    .language_version:
      - 2
      - 0
    .max_flat_workgroup_size: 256
    .name:           _ZN9rocsolver6v33100L18lasyf_kernel_lowerI19rocblas_complex_numIfEPS3_EEviiPiT0_iilS5_lS5_PT_
    .private_segment_fixed_size: 0
    .sgpr_count:     83
    .sgpr_spill_count: 0
    .symbol:         _ZN9rocsolver6v33100L18lasyf_kernel_lowerI19rocblas_complex_numIfEPS3_EEviiPiT0_iilS5_lS5_PT_.kd
    .uniform_work_group_size: 1
    .uses_dynamic_stack: false
    .vgpr_count:     58
    .vgpr_spill_count: 0
    .wavefront_size: 64
  - .agpr_count:     0
    .args:
      - .offset:         0
        .size:           4
        .value_kind:     by_value
      - .offset:         4
        .size:           4
        .value_kind:     by_value
      - .address_space:  global
        .offset:         8
        .size:           8
        .value_kind:     global_buffer
      - .address_space:  global
        .offset:         16
        .size:           8
        .value_kind:     global_buffer
      - .offset:         24
        .size:           4
        .value_kind:     by_value
      - .offset:         28
        .size:           4
        .value_kind:     by_value
      - .offset:         32
        .size:           8
        .value_kind:     by_value
      - .address_space:  global
        .offset:         40
        .size:           8
        .value_kind:     global_buffer
      - .offset:         48
        .size:           8
        .value_kind:     by_value
      - .address_space:  global
        .offset:         56
        .size:           8
        .value_kind:     global_buffer
      - .address_space:  global
        .offset:         64
        .size:           8
        .value_kind:     global_buffer
    .group_segment_fixed_size: 15392
    .kernarg_segment_align: 8
    .kernarg_segment_size: 72
    .language:       OpenCL C
    .language_version:
      - 2
      - 0
    .max_flat_workgroup_size: 256
    .name:           _ZN9rocsolver6v33100L18lasyf_kernel_upperI19rocblas_complex_numIdEPS3_EEviiPiT0_iilS5_lS5_PT_
    .private_segment_fixed_size: 0
    .sgpr_count:     87
    .sgpr_spill_count: 0
    .symbol:         _ZN9rocsolver6v33100L18lasyf_kernel_upperI19rocblas_complex_numIdEPS3_EEviiPiT0_iilS5_lS5_PT_.kd
    .uniform_work_group_size: 1
    .uses_dynamic_stack: false
    .vgpr_count:     48
    .vgpr_spill_count: 0
    .wavefront_size: 64
  - .agpr_count:     0
    .args:
      - .offset:         0
        .size:           4
        .value_kind:     by_value
      - .offset:         4
        .size:           4
        .value_kind:     by_value
      - .address_space:  global
        .offset:         8
        .size:           8
        .value_kind:     global_buffer
      - .address_space:  global
        .offset:         16
        .size:           8
        .value_kind:     global_buffer
      - .offset:         24
        .size:           4
        .value_kind:     by_value
      - .offset:         28
        .size:           4
        .value_kind:     by_value
      - .offset:         32
        .size:           8
        .value_kind:     by_value
      - .address_space:  global
        .offset:         40
        .size:           8
        .value_kind:     global_buffer
      - .offset:         48
        .size:           8
        .value_kind:     by_value
      - .address_space:  global
        .offset:         56
        .size:           8
        .value_kind:     global_buffer
      - .address_space:  global
        .offset:         64
        .size:           8
        .value_kind:     global_buffer
    .group_segment_fixed_size: 15392
    .kernarg_segment_align: 8
    .kernarg_segment_size: 72
    .language:       OpenCL C
    .language_version:
      - 2
      - 0
    .max_flat_workgroup_size: 256
    .name:           _ZN9rocsolver6v33100L18lasyf_kernel_lowerI19rocblas_complex_numIdEPS3_EEviiPiT0_iilS5_lS5_PT_
    .private_segment_fixed_size: 0
    .sgpr_count:     88
    .sgpr_spill_count: 0
    .symbol:         _ZN9rocsolver6v33100L18lasyf_kernel_lowerI19rocblas_complex_numIdEPS3_EEviiPiT0_iilS5_lS5_PT_.kd
    .uniform_work_group_size: 1
    .uses_dynamic_stack: false
    .vgpr_count:     60
    .vgpr_spill_count: 0
    .wavefront_size: 64
amdhsa.target:   amdgcn-amd-amdhsa--gfx950
amdhsa.version:
  - 1
  - 2
...

	.end_amdgpu_metadata
